;; amdgpu-corpus repo=ROCm/rocFFT kind=compiled arch=gfx906 opt=O3
	.text
	.amdgcn_target "amdgcn-amd-amdhsa--gfx906"
	.amdhsa_code_object_version 6
	.protected	bluestein_single_fwd_len1300_dim1_dp_op_CI_CI ; -- Begin function bluestein_single_fwd_len1300_dim1_dp_op_CI_CI
	.globl	bluestein_single_fwd_len1300_dim1_dp_op_CI_CI
	.p2align	8
	.type	bluestein_single_fwd_len1300_dim1_dp_op_CI_CI,@function
bluestein_single_fwd_len1300_dim1_dp_op_CI_CI: ; @bluestein_single_fwd_len1300_dim1_dp_op_CI_CI
; %bb.0:
	s_load_dwordx4 s[16:19], s[4:5], 0x28
	s_mov_b64 s[54:55], s[2:3]
	v_mul_u32_u24_e32 v1, 0x1f9, v0
	s_mov_b64 s[52:53], s[0:1]
	v_add_u32_sdwa v233, s6, v1 dst_sel:DWORD dst_unused:UNUSED_PAD src0_sel:DWORD src1_sel:WORD_1
	v_mov_b32_e32 v234, 0
	s_add_u32 s52, s52, s7
	s_waitcnt lgkmcnt(0)
	v_cmp_gt_u64_e32 vcc, s[16:17], v[233:234]
	s_addc_u32 s53, s53, 0
	s_and_saveexec_b64 s[0:1], vcc
	s_cbranch_execz .LBB0_10
; %bb.1:
	s_load_dwordx4 s[0:3], s[4:5], 0x18
	s_load_dwordx4 s[12:15], s[4:5], 0x0
	s_mov_b32 s17, 0xbfe2cf23
	s_mov_b32 s20, 0x9b97f4a8
	;; [unrolled: 1-line block ×3, first 2 shown]
	s_waitcnt lgkmcnt(0)
	s_load_dwordx4 s[8:11], s[0:1], 0x0
	s_movk_i32 s0, 0x82
	v_mul_lo_u16_sdwa v1, v1, s0 dst_sel:DWORD dst_unused:UNUSED_PAD src0_sel:WORD_1 src1_sel:DWORD
	v_sub_u16_e32 v13, v0, v1
	v_lshlrev_b32_e32 v255, 4, v13
	s_waitcnt lgkmcnt(0)
	v_mad_u64_u32 v[0:1], s[0:1], s10, v233, 0
	v_mad_u64_u32 v[2:3], s[0:1], s8, v13, 0
	s_mul_hi_u32 s6, s8, 0x820
	s_mul_i32 s7, s8, 0x820
	v_mad_u64_u32 v[4:5], s[0:1], s11, v233, v[1:2]
	v_mov_b32_e32 v39, v13
	v_mad_u64_u32 v[5:6], s[0:1], s9, v13, v[3:4]
	v_mov_b32_e32 v1, v4
	v_lshlrev_b64 v[0:1], 4, v[0:1]
	v_mov_b32_e32 v6, s19
	v_mov_b32_e32 v3, v5
	v_add_co_u32_e32 v4, vcc, s18, v0
	v_addc_co_u32_e32 v5, vcc, v6, v1, vcc
	v_lshlrev_b64 v[0:1], 4, v[2:3]
	v_mov_b32_e32 v2, s13
	v_add_co_u32_e32 v0, vcc, v4, v0
	v_addc_co_u32_e32 v1, vcc, v5, v1, vcc
	v_add_co_u32_e32 v178, vcc, s12, v255
	v_addc_co_u32_e64 v12, s[0:1], 0, v2, vcc
	s_mul_i32 s0, s9, 0x820
	s_add_i32 s6, s6, s0
	v_mov_b32_e32 v3, s6
	v_add_co_u32_e64 v2, s[0:1], s7, v0
	v_addc_co_u32_e64 v3, s[0:1], v1, v3, s[0:1]
	global_load_dwordx4 v[40:43], v[0:1], off
	global_load_dwordx4 v[44:47], v[2:3], off
	global_load_dwordx4 v[247:250], v255, s[12:13]
	global_load_dwordx4 v[20:23], v255, s[12:13] offset:2080
	v_mov_b32_e32 v1, s6
	v_add_co_u32_e64 v0, s[0:1], s7, v2
	v_addc_co_u32_e64 v1, s[0:1], v3, v1, s[0:1]
	s_movk_i32 s0, 0x1000
	v_add_co_u32_e64 v4, s[0:1], s0, v178
	v_addc_co_u32_e64 v5, s[0:1], 0, v12, s[0:1]
	v_mov_b32_e32 v2, s6
	v_add_co_u32_e64 v6, s[0:1], s7, v0
	v_addc_co_u32_e64 v7, s[0:1], v1, v2, s[0:1]
	global_load_dwordx4 v[48:51], v[0:1], off
	global_load_dwordx4 v[24:27], v[4:5], off offset:64
	global_load_dwordx4 v[234:237], v[4:5], off offset:2144
	v_mov_b32_e32 v0, s6
	v_add_co_u32_e64 v4, s[0:1], s7, v6
	v_addc_co_u32_e64 v5, s[0:1], v7, v0, s[0:1]
	s_movk_i32 s0, 0x2000
	v_add_co_u32_e64 v8, s[0:1], s0, v178
	v_addc_co_u32_e64 v9, s[0:1], 0, v12, s[0:1]
	v_add_co_u32_e64 v10, s[0:1], s7, v4
	v_addc_co_u32_e64 v11, s[0:1], v5, v0, s[0:1]
	global_load_dwordx4 v[52:55], v[6:7], off
	global_load_dwordx4 v[56:59], v[4:5], off
	global_load_dwordx4 v[60:63], v[10:11], off
	s_nop 0
	global_load_dwordx4 v[1:4], v[8:9], off offset:128
	global_load_dwordx4 v[238:241], v[8:9], off offset:2208
	v_add_co_u32_e64 v8, s[0:1], s7, v10
	v_addc_co_u32_e64 v9, s[0:1], v11, v0, s[0:1]
	s_movk_i32 s0, 0x3000
	v_add_co_u32_e64 v16, s[0:1], s0, v178
	v_addc_co_u32_e64 v17, s[0:1], 0, v12, s[0:1]
	v_add_co_u32_e64 v18, s[0:1], s7, v8
	v_addc_co_u32_e64 v19, s[0:1], v9, v0, s[0:1]
	;; [unrolled: 2-line block ×3, first 2 shown]
	s_movk_i32 s0, 0x4000
	v_add_co_u32_e64 v78, s[0:1], s0, v178
	global_load_dwordx4 v[64:67], v[8:9], off
	v_addc_co_u32_e64 v79, s[0:1], 0, v12, s[0:1]
	global_load_dwordx4 v[68:71], v[18:19], off
	global_load_dwordx4 v[5:8], v[16:17], off offset:192
	global_load_dwordx4 v[32:35], v[16:17], off offset:2272
	global_load_dwordx4 v[28:31], v[78:79], off offset:256
	global_load_dwordx4 v[9:12], v[78:79], off offset:2336
	global_load_dwordx4 v[72:75], v[76:77], off
	v_add_co_u32_e64 v76, s[0:1], s7, v76
	v_addc_co_u32_e64 v77, s[0:1], v77, v0, s[0:1]
	global_load_dwordx4 v[76:79], v[76:77], off
	s_mov_b32 s0, 0x134454ff
	s_mov_b32 s1, 0x3fee6f0e
	;; [unrolled: 1-line block ×7, first 2 shown]
	v_mul_lo_u16_e32 v0, 10, v39
	s_movk_i32 s12, 0xcd
	v_lshlrev_b32_e32 v179, 4, v0
	v_mul_lo_u16_sdwa v0, v39, s12 dst_sel:DWORD dst_unused:UNUSED_PAD src0_sel:BYTE_0 src1_sel:DWORD
	s_movk_i32 s12, 0x90
	s_waitcnt vmcnt(17)
	v_mul_f64 v[80:81], v[42:43], v[249:250]
	s_waitcnt vmcnt(16)
	v_mul_f64 v[84:85], v[46:47], v[22:23]
	v_mul_f64 v[82:83], v[40:41], v[249:250]
	;; [unrolled: 1-line block ×3, first 2 shown]
	v_fma_f64 v[40:41], v[40:41], v[247:248], v[80:81]
	v_fma_f64 v[44:45], v[44:45], v[20:21], v[84:85]
	v_fma_f64 v[42:43], v[42:43], v[247:248], -v[82:83]
	v_fma_f64 v[46:47], v[46:47], v[20:21], -v[86:87]
	s_waitcnt vmcnt(14)
	v_mul_f64 v[80:81], v[50:51], v[26:27]
	v_mul_f64 v[82:83], v[48:49], v[26:27]
	v_fma_f64 v[48:49], v[48:49], v[24:25], v[80:81]
	v_fma_f64 v[50:51], v[50:51], v[24:25], -v[82:83]
	s_waitcnt vmcnt(12)
	v_mul_f64 v[84:85], v[54:55], v[236:237]
	s_waitcnt vmcnt(9)
	v_mul_f64 v[88:89], v[58:59], v[3:4]
	;; [unrolled: 2-line block ×3, first 2 shown]
	v_mul_f64 v[86:87], v[52:53], v[236:237]
	v_mul_f64 v[90:91], v[56:57], v[3:4]
	;; [unrolled: 1-line block ×3, first 2 shown]
	v_fma_f64 v[52:53], v[52:53], v[234:235], v[84:85]
	v_fma_f64 v[56:57], v[56:57], v[1:2], v[88:89]
	buffer_store_dword v1, off, s[52:55], 0 ; 4-byte Folded Spill
	s_nop 0
	buffer_store_dword v2, off, s[52:55], 0 offset:4 ; 4-byte Folded Spill
	buffer_store_dword v3, off, s[52:55], 0 offset:8 ; 4-byte Folded Spill
	;; [unrolled: 1-line block ×3, first 2 shown]
	v_fma_f64 v[60:61], v[60:61], v[238:239], v[92:93]
	v_fma_f64 v[54:55], v[54:55], v[234:235], -v[86:87]
	v_fma_f64 v[62:63], v[62:63], v[238:239], -v[94:95]
	s_waitcnt vmcnt(9)
	v_mul_f64 v[80:81], v[66:67], v[7:8]
	s_waitcnt vmcnt(8)
	v_mul_f64 v[84:85], v[70:71], v[34:35]
	v_mul_f64 v[82:83], v[64:65], v[7:8]
	;; [unrolled: 1-line block ×3, first 2 shown]
	s_waitcnt vmcnt(5)
	v_mul_f64 v[88:89], v[74:75], v[30:31]
	s_waitcnt vmcnt(4)
	v_mul_f64 v[92:93], v[78:79], v[11:12]
	v_fma_f64 v[64:65], v[64:65], v[5:6], v[80:81]
	buffer_store_dword v5, off, s[52:55], 0 offset:16 ; 4-byte Folded Spill
	s_nop 0
	buffer_store_dword v6, off, s[52:55], 0 offset:20 ; 4-byte Folded Spill
	buffer_store_dword v7, off, s[52:55], 0 offset:24 ; 4-byte Folded Spill
	;; [unrolled: 1-line block ×3, first 2 shown]
	v_fma_f64 v[68:69], v[68:69], v[32:33], v[84:85]
	buffer_store_dword v32, off, s[52:55], 0 offset:48 ; 4-byte Folded Spill
	s_nop 0
	buffer_store_dword v33, off, s[52:55], 0 offset:52 ; 4-byte Folded Spill
	buffer_store_dword v34, off, s[52:55], 0 offset:56 ; 4-byte Folded Spill
	;; [unrolled: 1-line block ×3, first 2 shown]
	v_mul_f64 v[94:95], v[76:77], v[11:12]
	v_fma_f64 v[76:77], v[76:77], v[9:10], v[92:93]
	buffer_store_dword v9, off, s[52:55], 0 offset:32 ; 4-byte Folded Spill
	s_nop 0
	buffer_store_dword v10, off, s[52:55], 0 offset:36 ; 4-byte Folded Spill
	buffer_store_dword v11, off, s[52:55], 0 offset:40 ; 4-byte Folded Spill
	;; [unrolled: 1-line block ×3, first 2 shown]
	ds_write_b128 v255, v[40:43]
	ds_write_b128 v255, v[44:47] offset:2080
	s_load_dwordx4 s[8:11], s[2:3], 0x0
	s_mov_b32 s3, 0xbfee6f0e
	s_mov_b32 s2, s0
	v_fma_f64 v[58:59], v[58:59], v[1:2], -v[90:91]
	v_mul_f64 v[90:91], v[72:73], v[30:31]
	v_fma_f64 v[72:73], v[72:73], v[28:29], v[88:89]
	v_fma_f64 v[74:75], v[74:75], v[28:29], -v[90:91]
	v_fma_f64 v[66:67], v[66:67], v[5:6], -v[82:83]
	;; [unrolled: 1-line block ×4, first 2 shown]
	ds_write_b128 v255, v[48:51] offset:4160
	ds_write_b128 v255, v[52:55] offset:6240
	;; [unrolled: 1-line block ×8, first 2 shown]
	s_waitcnt vmcnt(0) lgkmcnt(0)
	s_barrier
	ds_read_b128 v[40:43], v255 offset:4160
	ds_read_b128 v[44:47], v255
	ds_read_b128 v[48:51], v255 offset:2080
	ds_read_b128 v[52:55], v255 offset:6240
	;; [unrolled: 1-line block ×6, first 2 shown]
	s_waitcnt lgkmcnt(6)
	v_add_f64 v[68:69], v[44:45], v[40:41]
	v_add_f64 v[70:71], v[46:47], v[42:43]
	s_waitcnt lgkmcnt(3)
	v_add_f64 v[84:85], v[40:41], -v[56:57]
	v_add_f64 v[86:87], v[56:57], -v[40:41]
	v_add_f64 v[92:93], v[42:43], -v[58:59]
	v_add_f64 v[94:95], v[58:59], -v[42:43]
	s_waitcnt lgkmcnt(0)
	v_add_f64 v[96:97], v[42:43], -v[74:75]
	v_add_f64 v[98:99], v[40:41], v[72:73]
	v_add_f64 v[76:77], v[68:69], v[56:57]
	;; [unrolled: 1-line block ×3, first 2 shown]
	ds_read_b128 v[68:71], v255 offset:14560
	v_add_f64 v[100:101], v[40:41], -v[72:73]
	v_add_f64 v[40:41], v[42:43], v[74:75]
	v_add_f64 v[102:103], v[50:51], v[54:55]
	;; [unrolled: 1-line block ×3, first 2 shown]
	v_add_f64 v[82:83], v[58:59], -v[62:63]
	v_add_f64 v[42:43], v[76:77], v[60:61]
	v_add_f64 v[76:77], v[78:79], v[62:63]
	;; [unrolled: 1-line block ×4, first 2 shown]
	v_add_f64 v[90:91], v[56:57], -v[60:61]
	ds_read_b128 v[56:59], v255 offset:18720
	v_add_f64 v[104:105], v[72:73], -v[60:61]
	v_add_f64 v[60:61], v[60:61], -v[72:73]
	;; [unrolled: 1-line block ×4, first 2 shown]
	v_add_f64 v[72:73], v[42:43], v[72:73]
	v_add_f64 v[74:75], v[76:77], v[74:75]
	;; [unrolled: 1-line block ×4, first 2 shown]
	s_waitcnt lgkmcnt(1)
	v_add_f64 v[78:79], v[64:65], v[68:69]
	v_add_f64 v[108:109], v[52:53], -v[64:65]
	v_add_f64 v[110:111], v[64:65], -v[52:53]
	s_waitcnt lgkmcnt(0)
	v_add_f64 v[118:119], v[52:53], v[56:57]
	v_add_f64 v[120:121], v[52:53], -v[56:57]
	v_add_f64 v[52:53], v[54:55], v[58:59]
	v_add_f64 v[102:103], v[66:67], -v[70:71]
	;; [unrolled: 2-line block ×3, first 2 shown]
	v_add_f64 v[114:115], v[54:55], -v[66:67]
	v_add_f64 v[66:67], v[66:67], -v[54:55]
	v_add_f64 v[116:117], v[54:55], -v[58:59]
	v_add_f64 v[42:43], v[42:43], v[68:69]
	v_add_f64 v[76:77], v[76:77], v[70:71]
	v_add_f64 v[54:55], v[56:57], -v[68:69]
	v_fma_f64 v[78:79], v[78:79], -0.5, v[48:49]
	v_fma_f64 v[52:53], v[52:53], -0.5, v[50:51]
	v_add_f64 v[68:69], v[68:69], -v[56:57]
	v_add_f64 v[122:123], v[58:59], -v[70:71]
	;; [unrolled: 1-line block ×3, first 2 shown]
	v_add_f64 v[56:57], v[42:43], v[56:57]
	v_add_f64 v[58:59], v[76:77], v[58:59]
	v_fma_f64 v[76:77], v[80:81], -0.5, v[44:45]
	v_fma_f64 v[80:81], v[98:99], -0.5, v[44:45]
	v_fma_f64 v[98:99], v[40:41], -0.5, v[46:47]
	v_fma_f64 v[112:113], v[112:113], -0.5, v[50:51]
	v_fma_f64 v[118:119], v[118:119], -0.5, v[48:49]
	v_fma_f64 v[40:41], v[116:117], s[0:1], v[78:79]
	v_add_f64 v[108:109], v[108:109], v[54:55]
	v_fma_f64 v[54:55], v[64:65], s[0:1], v[52:53]
	v_fma_f64 v[88:89], v[88:89], -0.5, v[46:47]
	v_add_f64 v[44:45], v[72:73], -v[56:57]
	v_add_f64 v[66:67], v[66:67], v[70:71]
	v_fma_f64 v[42:43], v[120:121], s[2:3], v[112:113]
	v_add_f64 v[114:115], v[114:115], v[122:123]
	v_fma_f64 v[48:49], v[102:103], s[6:7], v[40:41]
	;; [unrolled: 2-line block ×3, first 2 shown]
	v_fma_f64 v[54:55], v[120:121], s[16:17], v[54:55]
	v_add_f64 v[46:47], v[74:75], -v[58:59]
	v_fma_f64 v[72:73], v[100:101], s[2:3], v[88:89]
	v_fma_f64 v[50:51], v[64:65], s[16:17], v[42:43]
	v_add_f64 v[42:43], v[74:75], v[58:59]
	v_fma_f64 v[48:49], v[108:109], s[18:19], v[48:49]
	v_fma_f64 v[58:59], v[96:97], s[0:1], v[76:77]
	v_add_f64 v[68:69], v[110:111], v[68:69]
	;; [unrolled: 3-line block ×3, first 2 shown]
	v_fma_f64 v[50:51], v[114:115], s[18:19], v[50:51]
	v_add_f64 v[84:85], v[92:93], v[106:107]
	v_mul_f64 v[70:71], v[48:49], s[20:21]
	v_mul_f64 v[48:49], v[48:49], s[16:17]
	v_fma_f64 v[58:59], v[82:83], s[6:7], v[58:59]
	v_fma_f64 v[72:73], v[90:91], s[16:17], v[72:73]
	;; [unrolled: 1-line block ×3, first 2 shown]
	v_mul_f64 v[104:105], v[54:55], s[0:1]
	v_fma_f64 v[110:111], v[64:65], s[2:3], v[52:53]
	v_fma_f64 v[78:79], v[116:117], s[2:3], v[78:79]
	;; [unrolled: 1-line block ×8, first 2 shown]
	v_mul_f64 v[106:107], v[56:57], s[2:3]
	v_fma_f64 v[104:105], v[56:57], s[18:19], v[104:105]
	v_fma_f64 v[56:57], v[102:103], s[0:1], v[118:119]
	v_fma_f64 v[112:113], v[120:121], s[0:1], v[112:113]
	v_add_f64 v[60:61], v[86:87], v[60:61]
	v_add_f64 v[62:63], v[94:95], v[62:63]
	v_fma_f64 v[86:87], v[96:97], s[6:7], v[48:49]
	v_fma_f64 v[94:95], v[100:101], s[16:17], v[50:51]
	v_add_f64 v[48:49], v[58:59], v[70:71]
	v_add_f64 v[50:51], v[72:73], v[92:93]
	v_fma_f64 v[106:107], v[54:55], s[18:19], v[106:107]
	v_add_f64 v[52:53], v[58:59], -v[70:71]
	v_add_f64 v[54:55], v[72:73], -v[92:93]
	v_fma_f64 v[70:71], v[116:117], s[16:17], v[56:57]
	v_fma_f64 v[72:73], v[120:121], s[6:7], v[110:111]
	;; [unrolled: 1-line block ×16, first 2 shown]
	v_mul_f64 v[88:89], v[68:69], s[18:19]
	v_mul_f64 v[92:93], v[66:67], s[18:19]
	v_fma_f64 v[70:71], v[82:83], s[16:17], v[70:71]
	v_fma_f64 v[72:73], v[90:91], s[6:7], v[72:73]
	v_mul_f64 v[82:83], v[76:77], s[20:21]
	v_mul_f64 v[90:91], v[64:65], s[20:21]
	v_fma_f64 v[78:79], v[60:61], s[18:19], v[78:79]
	v_fma_f64 v[80:81], v[62:63], s[18:19], v[80:81]
	v_fma_f64 v[88:89], v[66:67], s[0:1], -v[88:89]
	v_fma_f64 v[92:93], v[68:69], s[2:3], -v[92:93]
	v_fma_f64 v[96:97], v[74:75], s[18:19], v[70:71]
	v_fma_f64 v[84:85], v[84:85], s[18:19], v[72:73]
	v_fma_f64 v[82:83], v[64:65], s[6:7], -v[82:83]
	v_fma_f64 v[90:91], v[76:77], s[16:17], -v[90:91]
	v_add_f64 v[56:57], v[86:87], v[104:105]
	v_add_f64 v[58:59], v[94:95], v[106:107]
	;; [unrolled: 1-line block ×4, first 2 shown]
	v_add_f64 v[60:61], v[86:87], -v[104:105]
	v_add_f64 v[62:63], v[94:95], -v[106:107]
	v_add_f64 v[72:73], v[96:97], v[82:83]
	v_add_f64 v[74:75], v[84:85], v[90:91]
	v_add_f64 v[76:77], v[96:97], -v[82:83]
	v_add_f64 v[68:69], v[78:79], -v[88:89]
	;; [unrolled: 1-line block ×4, first 2 shown]
	s_barrier
	ds_write_b128 v179, v[40:43]
	ds_write_b128 v179, v[48:51] offset:16
	ds_write_b128 v179, v[56:59] offset:32
	;; [unrolled: 1-line block ×9, first 2 shown]
	v_lshrrev_b16_e32 v76, 11, v0
	v_mul_lo_u16_e32 v0, 10, v76
	v_sub_u16_e32 v0, v39, v0
	v_mov_b32_e32 v41, s15
	v_and_b32_e32 v77, 0xff, v0
	v_mov_b32_e32 v40, s14
	v_mad_u64_u32 v[78:79], s[22:23], v77, s12, v[40:41]
	s_waitcnt lgkmcnt(0)
	s_barrier
	global_load_dwordx4 v[48:51], v[78:79], off
	global_load_dwordx4 v[44:47], v[78:79], off offset:16
	global_load_dwordx4 v[40:43], v[78:79], off offset:32
	;; [unrolled: 1-line block ×8, first 2 shown]
	ds_read_b128 v[78:81], v255 offset:2080
	ds_read_b128 v[82:85], v255
	ds_read_b128 v[86:89], v255 offset:4160
	ds_read_b128 v[90:93], v255 offset:6240
	v_mul_u32_u24_e32 v0, 0x64, v76
	v_add_lshl_u32 v180, v0, v77, 4
	s_waitcnt vmcnt(8) lgkmcnt(3)
	v_mul_f64 v[94:95], v[80:81], v[50:51]
	v_mul_f64 v[98:99], v[78:79], v[50:51]
	s_waitcnt vmcnt(7) lgkmcnt(1)
	v_mul_f64 v[100:101], v[88:89], v[46:47]
	v_mul_f64 v[102:103], v[86:87], v[46:47]
	s_waitcnt vmcnt(6) lgkmcnt(0)
	v_mul_f64 v[106:107], v[92:93], v[42:43]
	v_mul_f64 v[108:109], v[90:91], v[42:43]
	v_fma_f64 v[104:105], v[78:79], v[48:49], -v[94:95]
	ds_read_b128 v[94:97], v255 offset:8320
	v_fma_f64 v[110:111], v[80:81], v[48:49], v[98:99]
	ds_read_b128 v[78:81], v255 offset:10400
	v_fma_f64 v[112:113], v[86:87], v[44:45], -v[100:101]
	v_fma_f64 v[102:103], v[88:89], v[44:45], v[102:103]
	s_waitcnt vmcnt(5) lgkmcnt(1)
	v_mul_f64 v[98:99], v[96:97], v[54:55]
	v_mul_f64 v[100:101], v[94:95], v[54:55]
	ds_read_b128 v[86:89], v255 offset:12480
	v_fma_f64 v[106:107], v[90:91], v[40:41], -v[106:107]
	v_fma_f64 v[108:109], v[92:93], v[40:41], v[108:109]
	s_waitcnt vmcnt(4) lgkmcnt(1)
	v_mul_f64 v[114:115], v[80:81], v[58:59]
	v_mul_f64 v[116:117], v[78:79], v[58:59]
	s_waitcnt vmcnt(3) lgkmcnt(0)
	v_mul_f64 v[122:123], v[88:89], v[62:63]
	v_fma_f64 v[118:119], v[94:95], v[52:53], -v[98:99]
	v_fma_f64 v[120:121], v[96:97], v[52:53], v[100:101]
	ds_read_b128 v[90:93], v255 offset:16640
	ds_read_b128 v[94:97], v255 offset:14560
	v_mul_f64 v[124:125], v[86:87], v[62:63]
	ds_read_b128 v[98:101], v255 offset:18720
	v_fma_f64 v[78:79], v[78:79], v[56:57], -v[114:115]
	s_waitcnt vmcnt(2) lgkmcnt(2)
	v_mul_f64 v[126:127], v[92:93], v[70:71]
	s_waitcnt vmcnt(1) lgkmcnt(1)
	v_mul_f64 v[128:129], v[96:97], v[66:67]
	v_mul_f64 v[130:131], v[94:95], v[66:67]
	;; [unrolled: 1-line block ×3, first 2 shown]
	v_fma_f64 v[86:87], v[86:87], v[60:61], -v[122:123]
	v_fma_f64 v[80:81], v[80:81], v[56:57], v[116:117]
	v_fma_f64 v[88:89], v[88:89], v[60:61], v[124:125]
	s_waitcnt vmcnt(0) lgkmcnt(0)
	v_mul_f64 v[116:117], v[100:101], v[74:75]
	v_fma_f64 v[90:91], v[90:91], v[68:69], -v[126:127]
	v_fma_f64 v[94:95], v[94:95], v[64:65], -v[128:129]
	v_fma_f64 v[114:115], v[96:97], v[64:65], v[130:131]
	v_fma_f64 v[92:93], v[92:93], v[68:69], v[132:133]
	v_mul_f64 v[122:123], v[98:99], v[74:75]
	v_add_f64 v[124:125], v[118:119], v[86:87]
	v_add_f64 v[128:129], v[84:85], v[102:103]
	;; [unrolled: 1-line block ×5, first 2 shown]
	v_fma_f64 v[116:117], v[98:99], v[72:73], -v[116:117]
	v_add_f64 v[130:131], v[104:105], v[106:107]
	v_fma_f64 v[100:101], v[100:101], v[72:73], v[122:123]
	v_fma_f64 v[122:123], v[124:125], -0.5, v[82:83]
	v_add_f64 v[98:99], v[128:129], v[120:121]
	v_add_f64 v[128:129], v[80:81], v[114:115]
	v_fma_f64 v[82:83], v[126:127], -0.5, v[82:83]
	v_add_f64 v[126:127], v[132:133], v[80:81]
	v_add_f64 v[132:133], v[78:79], v[94:95]
	v_add_f64 v[140:141], v[106:107], -v[116:117]
	v_add_f64 v[142:143], v[108:109], -v[100:101]
	v_add_f64 v[96:97], v[96:97], v[118:119]
	v_add_f64 v[124:125], v[130:131], v[78:79]
	v_fma_f64 v[128:129], v[128:129], -0.5, v[110:111]
	v_add_f64 v[130:131], v[120:121], v[88:89]
	v_add_f64 v[134:135], v[102:103], v[92:93]
	v_fma_f64 v[132:133], v[132:133], -0.5, v[104:105]
	v_add_f64 v[98:99], v[98:99], v[88:89]
	v_add_f64 v[126:127], v[126:127], v[114:115]
	v_add_f64 v[136:137], v[106:107], -v[78:79]
	v_add_f64 v[138:139], v[116:117], -v[94:95]
	;; [unrolled: 1-line block ×4, first 2 shown]
	v_fma_f64 v[148:149], v[140:141], s[2:3], v[128:129]
	v_add_f64 v[150:151], v[78:79], -v[94:95]
	v_fma_f64 v[152:153], v[142:143], s[0:1], v[132:133]
	v_add_f64 v[154:155], v[80:81], -v[114:115]
	v_add_f64 v[162:163], v[108:109], v[100:101]
	v_add_f64 v[164:165], v[106:107], v[116:117]
	;; [unrolled: 1-line block ×6, first 2 shown]
	v_fma_f64 v[130:131], v[130:131], -0.5, v[84:85]
	v_fma_f64 v[84:85], v[134:135], -0.5, v[84:85]
	v_add_f64 v[134:135], v[136:137], v[138:139]
	v_add_f64 v[144:145], v[144:145], v[146:147]
	v_fma_f64 v[146:147], v[150:151], s[16:17], v[148:149]
	v_fma_f64 v[148:149], v[154:155], s[6:7], v[152:153]
	v_add_f64 v[158:159], v[102:103], -v[120:121]
	v_add_f64 v[160:161], v[92:93], -v[88:89]
	v_fma_f64 v[110:111], v[162:163], -0.5, v[110:111]
	v_fma_f64 v[104:105], v[164:165], -0.5, v[104:105]
	v_add_f64 v[96:97], v[96:97], v[90:91]
	v_add_f64 v[124:125], v[124:125], v[116:117]
	;; [unrolled: 1-line block ×3, first 2 shown]
	v_add_f64 v[152:153], v[112:113], -v[118:119]
	v_add_f64 v[156:157], v[90:91], -v[86:87]
	v_fma_f64 v[148:149], v[134:135], s[18:19], v[148:149]
	v_add_f64 v[98:99], v[98:99], -v[126:127]
	v_add_f64 v[126:127], v[158:159], v[160:161]
	v_add_f64 v[158:159], v[102:103], -v[92:93]
	v_add_f64 v[160:161], v[112:113], -v[90:91]
	;; [unrolled: 1-line block ×6, first 2 shown]
	v_fma_f64 v[106:107], v[150:151], s[0:1], v[110:111]
	v_fma_f64 v[108:109], v[154:155], s[2:3], v[104:105]
	v_add_f64 v[136:137], v[96:97], v[124:125]
	v_fma_f64 v[146:147], v[144:145], s[18:19], v[146:147]
	v_add_f64 v[96:97], v[96:97], -v[124:125]
	v_add_f64 v[124:125], v[152:153], v[156:157]
	v_mul_f64 v[156:157], v[148:149], s[16:17]
	v_fma_f64 v[114:115], v[158:159], s[0:1], v[122:123]
	v_add_f64 v[116:117], v[120:121], -v[88:89]
	v_fma_f64 v[162:163], v[160:161], s[2:3], v[130:131]
	v_add_f64 v[164:165], v[118:119], -v[86:87]
	v_add_f64 v[78:79], v[78:79], v[94:95]
	v_add_f64 v[80:81], v[80:81], v[100:101]
	v_fma_f64 v[94:95], v[140:141], s[16:17], v[106:107]
	v_fma_f64 v[100:101], v[142:143], s[6:7], v[108:109]
	v_mul_f64 v[152:153], v[146:147], s[6:7]
	v_fma_f64 v[108:109], v[146:147], s[20:21], v[156:157]
	v_fma_f64 v[114:115], v[116:117], s[6:7], v[114:115]
	;; [unrolled: 1-line block ×3, first 2 shown]
	v_add_f64 v[86:87], v[86:87], -v[90:91]
	v_add_f64 v[88:89], v[88:89], -v[92:93]
	v_fma_f64 v[90:91], v[80:81], s[18:19], v[94:95]
	v_fma_f64 v[100:101], v[78:79], s[18:19], v[100:101]
	v_add_f64 v[94:95], v[120:121], -v[102:103]
	v_fma_f64 v[102:103], v[164:165], s[0:1], v[84:85]
	v_fma_f64 v[106:107], v[148:149], s[20:21], v[152:153]
	;; [unrolled: 3-line block ×3, first 2 shown]
	v_fma_f64 v[118:119], v[126:127], s[18:19], v[146:147]
	v_mul_f64 v[120:121], v[90:91], s[0:1]
	v_mul_f64 v[146:147], v[100:101], s[2:3]
	v_add_f64 v[88:89], v[94:95], v[88:89]
	v_fma_f64 v[102:103], v[160:161], s[16:17], v[102:103]
	v_fma_f64 v[104:105], v[154:155], s[0:1], v[104:105]
	;; [unrolled: 1-line block ×5, first 2 shown]
	v_add_f64 v[86:87], v[112:113], v[86:87]
	v_fma_f64 v[112:113], v[158:159], s[6:7], v[92:93]
	v_add_f64 v[92:93], v[114:115], v[106:107]
	v_add_f64 v[94:95], v[118:119], v[108:109]
	v_fma_f64 v[120:121], v[100:101], s[18:19], v[120:121]
	v_fma_f64 v[90:91], v[90:91], s[18:19], v[146:147]
	;; [unrolled: 1-line block ×3, first 2 shown]
	v_add_f64 v[100:101], v[114:115], -v[106:107]
	v_add_f64 v[102:103], v[118:119], -v[108:109]
	v_fma_f64 v[104:105], v[142:143], s[16:17], v[104:105]
	v_fma_f64 v[106:107], v[140:141], s[6:7], v[110:111]
	;; [unrolled: 1-line block ×7, first 2 shown]
	v_add_f64 v[110:111], v[146:147], v[90:91]
	v_fma_f64 v[78:79], v[78:79], s[18:19], v[104:105]
	v_fma_f64 v[80:81], v[80:81], s[18:19], v[106:107]
	v_fma_f64 v[104:105], v[158:159], s[2:3], v[122:123]
	v_fma_f64 v[106:107], v[160:161], s[0:1], v[130:131]
	v_fma_f64 v[114:115], v[134:135], s[18:19], v[114:115]
	v_fma_f64 v[118:119], v[144:145], s[18:19], v[118:119]
	v_fma_f64 v[82:83], v[158:159], s[16:17], v[82:83]
	v_fma_f64 v[84:85], v[160:161], s[6:7], v[84:85]
	v_mul_f64 v[122:123], v[78:79], s[18:19]
	v_mul_f64 v[128:129], v[80:81], s[18:19]
	v_fma_f64 v[104:105], v[116:117], s[16:17], v[104:105]
	v_fma_f64 v[106:107], v[164:165], s[6:7], v[106:107]
	v_mul_f64 v[116:117], v[114:115], s[20:21]
	v_mul_f64 v[130:131], v[118:119], s[20:21]
	v_fma_f64 v[82:83], v[86:87], s[18:19], v[82:83]
	v_fma_f64 v[84:85], v[88:89], s[18:19], v[84:85]
	v_fma_f64 v[80:81], v[80:81], s[0:1], -v[122:123]
	v_fma_f64 v[78:79], v[78:79], s[2:3], -v[128:129]
	v_fma_f64 v[86:87], v[124:125], s[18:19], v[104:105]
	v_fma_f64 v[88:89], v[126:127], s[18:19], v[106:107]
	v_fma_f64 v[124:125], v[118:119], s[6:7], -v[116:117]
	v_fma_f64 v[126:127], v[114:115], s[16:17], -v[130:131]
	v_add_f64 v[108:109], v[112:113], v[120:121]
	v_add_f64 v[104:105], v[112:113], -v[120:121]
	v_add_f64 v[106:107], v[146:147], -v[90:91]
	v_add_f64 v[112:113], v[82:83], v[80:81]
	v_add_f64 v[114:115], v[84:85], v[78:79]
	v_add_f64 v[120:121], v[82:83], -v[80:81]
	v_add_f64 v[122:123], v[84:85], -v[78:79]
	v_add_f64 v[116:117], v[86:87], v[124:125]
	v_add_f64 v[118:119], v[88:89], v[126:127]
	v_add_f64 v[124:125], v[86:87], -v[124:125]
	v_add_f64 v[126:127], v[88:89], -v[126:127]
	s_load_dwordx2 s[6:7], s[4:5], 0x38
	s_movk_i32 s0, 0x64
	v_cmp_gt_u16_e64 s[0:1], s0, v39
	s_waitcnt lgkmcnt(0)
	s_barrier
	ds_write_b128 v180, v[136:139]
	ds_write_b128 v180, v[92:95] offset:160
	ds_write_b128 v180, v[108:111] offset:320
	;; [unrolled: 1-line block ×9, first 2 shown]
	s_waitcnt lgkmcnt(0)
	s_barrier
	s_waitcnt lgkmcnt(0)
                                        ; implicit-def: $vgpr128_vgpr129
                                        ; implicit-def: $vgpr132_vgpr133
                                        ; implicit-def: $vgpr140_vgpr141
	s_and_saveexec_b64 s[2:3], s[0:1]
	s_cbranch_execz .LBB0_3
; %bb.2:
	ds_read_b128 v[136:139], v255
	ds_read_b128 v[92:95], v255 offset:1600
	ds_read_b128 v[108:111], v255 offset:3200
	;; [unrolled: 1-line block ×12, first 2 shown]
.LBB0_3:
	s_or_b64 exec, exec, s[2:3]
	v_add_u32_e32 v0, 0xffffff9c, v39
	v_cndmask_b32_e64 v0, v0, v39, s[0:1]
	v_mul_hi_i32_i24_e32 v1, 0xc0, v0
	v_mul_i32_i24_e32 v0, 0xc0, v0
	v_add_co_u32_e64 v144, s[2:3], s14, v0
	v_mov_b32_e32 v0, s15
	v_addc_co_u32_e64 v145, s[2:3], v0, v1, s[2:3]
	global_load_dwordx4 v[84:87], v[144:145], off offset:1488
	global_load_dwordx4 v[80:83], v[144:145], off offset:1472
	global_load_dwordx4 v[33:36], v[144:145], off offset:1456
	global_load_dwordx4 v[88:91], v[144:145], off offset:1440
	s_mov_b32 s14, 0x42a4c3d2
	s_mov_b32 s15, 0xbfea55e2
	;; [unrolled: 1-line block ×32, first 2 shown]
	s_waitcnt vmcnt(0) lgkmcnt(11)
	v_mul_f64 v[146:147], v[94:95], v[90:91]
	v_fma_f64 v[12:13], v[92:93], v[88:89], -v[146:147]
	v_mul_f64 v[92:93], v[92:93], v[90:91]
	v_fma_f64 v[14:15], v[94:95], v[88:89], v[92:93]
	s_waitcnt lgkmcnt(10)
	v_mul_f64 v[92:93], v[110:111], v[35:36]
	v_fma_f64 v[8:9], v[108:109], v[33:34], -v[92:93]
	v_mul_f64 v[92:93], v[108:109], v[35:36]
	v_fma_f64 v[10:11], v[110:111], v[33:34], v[92:93]
	s_waitcnt lgkmcnt(9)
	;; [unrolled: 5-line block ×3, first 2 shown]
	v_mul_f64 v[92:93], v[118:119], v[86:87]
	v_fma_f64 v[2:3], v[116:117], v[84:85], -v[92:93]
	v_mul_f64 v[92:93], v[116:117], v[86:87]
	v_fma_f64 v[0:1], v[118:119], v[84:85], v[92:93]
	global_load_dwordx4 v[92:95], v[144:145], off offset:1552
	global_load_dwordx4 v[108:111], v[144:145], off offset:1536
	;; [unrolled: 1-line block ×4, first 2 shown]
	s_waitcnt vmcnt(0) lgkmcnt(7)
	v_mul_f64 v[146:147], v[98:99], v[118:119]
	v_fma_f64 v[187:188], v[96:97], v[116:117], -v[146:147]
	v_mul_f64 v[96:97], v[96:97], v[118:119]
	v_fma_f64 v[189:190], v[98:99], v[116:117], v[96:97]
	s_waitcnt lgkmcnt(6)
	v_mul_f64 v[96:97], v[102:103], v[114:115]
	v_fma_f64 v[183:184], v[100:101], v[112:113], -v[96:97]
	v_mul_f64 v[96:97], v[100:101], v[114:115]
	v_fma_f64 v[185:186], v[102:103], v[112:113], v[96:97]
	s_waitcnt lgkmcnt(5)
	v_mul_f64 v[96:97], v[106:107], v[110:111]
	v_fma_f64 v[37:38], v[104:105], v[108:109], -v[96:97]
	v_mul_f64 v[96:97], v[104:105], v[110:111]
	v_add_f64 v[176:177], v[183:184], -v[37:38]
	v_fma_f64 v[181:182], v[106:107], v[108:109], v[96:97]
	s_waitcnt lgkmcnt(4)
	v_mul_f64 v[96:97], v[122:123], v[94:95]
	v_add_f64 v[172:173], v[183:184], v[37:38]
	v_mul_f64 v[162:163], v[176:177], s[28:29]
	v_add_f64 v[225:226], v[185:186], -v[181:182]
	v_fma_f64 v[16:17], v[120:121], v[92:93], -v[96:97]
	v_mul_f64 v[96:97], v[120:121], v[94:95]
	v_add_f64 v[174:175], v[185:186], v[181:182]
	v_mul_f64 v[168:169], v[176:177], s[44:45]
	v_mul_f64 v[166:167], v[225:226], s[44:45]
	v_add_f64 v[164:165], v[187:188], -v[16:17]
	v_fma_f64 v[18:19], v[122:123], v[92:93], v[96:97]
	global_load_dwordx4 v[104:107], v[144:145], off offset:1616
	global_load_dwordx4 v[100:103], v[144:145], off offset:1600
	global_load_dwordx4 v[96:99], v[144:145], off offset:1584
	global_load_dwordx4 v[120:123], v[144:145], off offset:1568
	v_add_f64 v[156:157], v[187:188], v[16:17]
	v_mul_f64 v[154:155], v[164:165], s[14:15]
	v_add_f64 v[170:171], v[189:190], -v[18:19]
	v_add_f64 v[160:161], v[189:190], v[18:19]
	v_mul_f64 v[146:147], v[170:171], s[14:15]
	s_waitcnt vmcnt(0) lgkmcnt(3)
	v_mul_f64 v[144:145], v[126:127], v[122:123]
	v_fma_f64 v[207:208], v[124:125], v[120:121], -v[144:145]
	v_mul_f64 v[124:125], v[124:125], v[122:123]
	v_add_f64 v[219:220], v[2:3], -v[207:208]
	v_fma_f64 v[217:218], v[126:127], v[120:121], v[124:125]
	s_waitcnt lgkmcnt(2)
	v_mul_f64 v[124:125], v[130:131], v[98:99]
	v_add_f64 v[201:202], v[2:3], v[207:208]
	v_mul_f64 v[209:210], v[219:220], s[40:41]
	v_add_f64 v[150:151], v[0:1], -v[217:218]
	v_fma_f64 v[199:200], v[128:129], v[96:97], -v[124:125]
	v_mul_f64 v[124:125], v[128:129], v[98:99]
	v_add_f64 v[213:214], v[0:1], v[217:218]
	v_add_f64 v[253:254], v[4:5], -v[199:200]
	v_fma_f64 v[203:204], v[130:131], v[96:97], v[124:125]
	s_waitcnt lgkmcnt(1)
	v_mul_f64 v[124:125], v[134:135], v[102:103]
	v_add_f64 v[245:246], v[4:5], v[199:200]
	v_add_f64 v[193:194], v[6:7], -v[203:204]
	v_fma_f64 v[195:196], v[132:133], v[100:101], -v[124:125]
	v_mul_f64 v[124:125], v[132:133], v[102:103]
	v_add_f64 v[251:252], v[6:7], v[203:204]
	v_add_f64 v[227:228], v[8:9], -v[195:196]
	v_fma_f64 v[197:198], v[134:135], v[100:101], v[124:125]
	s_waitcnt lgkmcnt(0)
	v_mul_f64 v[124:125], v[142:143], v[106:107]
	v_add_f64 v[223:224], v[8:9], v[195:196]
	v_mul_f64 v[144:145], v[227:228], s[26:27]
	v_add_f64 v[229:230], v[10:11], -v[197:198]
	v_fma_f64 v[191:192], v[140:141], v[104:105], -v[124:125]
	v_mul_f64 v[124:125], v[140:141], v[106:107]
	v_add_f64 v[231:232], v[10:11], v[197:198]
	v_mul_f64 v[78:79], v[229:230], s[14:15]
	v_add_f64 v[211:212], v[12:13], -v[191:192]
	v_fma_f64 v[142:143], v[142:143], v[104:105], v[124:125]
	v_add_f64 v[205:206], v[12:13], v[191:192]
	v_mul_f64 v[76:77], v[211:212], s[14:15]
	buffer_store_dword v76, off, s[52:55], 0 offset:72 ; 4-byte Folded Spill
	s_nop 0
	buffer_store_dword v77, off, s[52:55], 0 offset:76 ; 4-byte Folded Spill
	v_add_f64 v[221:222], v[14:15], v[142:143]
	v_add_f64 v[215:216], v[14:15], -v[142:143]
	v_mul_f64 v[152:153], v[211:212], s[18:19]
	v_mul_f64 v[148:149], v[215:216], s[18:19]
	v_fma_f64 v[126:127], v[221:222], s[2:3], -v[152:153]
	v_mul_f64 v[158:159], v[215:216], s[14:15]
	v_mul_f64 v[242:243], v[215:216], s[22:23]
	v_fma_f64 v[124:125], v[205:206], s[2:3], v[148:149]
	v_add_f64 v[126:127], v[138:139], v[126:127]
	v_fma_f64 v[128:129], v[205:206], s[4:5], v[158:159]
	v_fma_f64 v[132:133], v[205:206], s[16:17], v[242:243]
	v_add_f64 v[124:125], v[136:137], v[124:125]
	v_add_f64 v[128:129], v[136:137], v[128:129]
	;; [unrolled: 1-line block ×3, first 2 shown]
	v_fma_f64 v[130:131], v[221:222], s[4:5], -v[76:77]
	v_mul_f64 v[76:77], v[211:212], s[22:23]
	buffer_store_dword v76, off, s[52:55], 0 offset:96 ; 4-byte Folded Spill
	s_nop 0
	buffer_store_dword v77, off, s[52:55], 0 offset:100 ; 4-byte Folded Spill
	buffer_store_dword v78, off, s[52:55], 0 offset:192 ; 4-byte Folded Spill
	s_nop 0
	buffer_store_dword v79, off, s[52:55], 0 offset:196 ; 4-byte Folded Spill
	v_add_f64 v[130:131], v[138:139], v[130:131]
	v_fma_f64 v[134:135], v[221:222], s[16:17], -v[76:77]
	v_mul_f64 v[76:77], v[227:228], s[14:15]
	buffer_store_dword v76, off, s[52:55], 0 offset:248 ; 4-byte Folded Spill
	s_nop 0
	buffer_store_dword v77, off, s[52:55], 0 offset:252 ; 4-byte Folded Spill
	v_fma_f64 v[140:141], v[223:224], s[4:5], v[78:79]
	v_add_f64 v[134:135], v[138:139], v[134:135]
	v_add_f64 v[124:125], v[140:141], v[124:125]
	v_fma_f64 v[140:141], v[231:232], s[4:5], -v[76:77]
	v_add_f64 v[126:127], v[140:141], v[126:127]
	v_mul_f64 v[140:141], v[229:230], s[26:27]
	buffer_store_dword v140, off, s[52:55], 0 offset:64 ; 4-byte Folded Spill
	s_nop 0
	buffer_store_dword v141, off, s[52:55], 0 offset:68 ; 4-byte Folded Spill
	buffer_store_dword v144, off, s[52:55], 0 offset:80 ; 4-byte Folded Spill
	s_nop 0
	buffer_store_dword v145, off, s[52:55], 0 offset:84 ; 4-byte Folded Spill
	v_fma_f64 v[140:141], v[223:224], s[20:21], v[140:141]
	v_add_f64 v[128:129], v[140:141], v[128:129]
	v_fma_f64 v[140:141], v[231:232], s[20:21], -v[144:145]
	v_mul_f64 v[144:145], v[227:228], s[28:29]
	v_add_f64 v[130:131], v[140:141], v[130:131]
	v_mul_f64 v[140:141], v[229:230], s[28:29]
	buffer_store_dword v140, off, s[52:55], 0 offset:88 ; 4-byte Folded Spill
	s_nop 0
	buffer_store_dword v141, off, s[52:55], 0 offset:92 ; 4-byte Folded Spill
	buffer_store_dword v144, off, s[52:55], 0 offset:104 ; 4-byte Folded Spill
	s_nop 0
	buffer_store_dword v145, off, s[52:55], 0 offset:108 ; 4-byte Folded Spill
	v_fma_f64 v[140:141], v[223:224], s[24:25], v[140:141]
	v_add_f64 v[132:133], v[140:141], v[132:133]
	v_fma_f64 v[140:141], v[231:232], s[24:25], -v[144:145]
	v_mul_f64 v[144:145], v[253:254], s[22:23]
	;; [unrolled: 12-line block ×7, first 2 shown]
	v_add_f64 v[130:131], v[140:141], v[130:131]
	v_mul_f64 v[140:141], v[150:151], s[40:41]
	buffer_store_dword v140, off, s[52:55], 0 offset:200 ; 4-byte Folded Spill
	s_nop 0
	buffer_store_dword v141, off, s[52:55], 0 offset:204 ; 4-byte Folded Spill
	v_fma_f64 v[140:141], v[201:202], s[2:3], v[140:141]
	v_add_f64 v[132:133], v[140:141], v[132:133]
	v_fma_f64 v[140:141], v[213:214], s[2:3], -v[209:210]
	v_add_f64 v[134:135], v[140:141], v[134:135]
	v_mul_f64 v[140:141], v[170:171], s[44:45]
	buffer_store_dword v140, off, s[52:55], 0 offset:208 ; 4-byte Folded Spill
	s_nop 0
	buffer_store_dword v141, off, s[52:55], 0 offset:212 ; 4-byte Folded Spill
	buffer_store_dword v144, off, s[52:55], 0 offset:216 ; 4-byte Folded Spill
	s_nop 0
	buffer_store_dword v145, off, s[52:55], 0 offset:220 ; 4-byte Folded Spill
	v_fma_f64 v[140:141], v[156:157], s[30:31], v[140:141]
	v_add_f64 v[124:125], v[140:141], v[124:125]
	v_fma_f64 v[140:141], v[160:161], s[30:31], -v[144:145]
	v_mul_f64 v[144:145], v[164:165], s[42:43]
	v_add_f64 v[126:127], v[140:141], v[126:127]
	v_mul_f64 v[140:141], v[170:171], s[42:43]
	buffer_store_dword v140, off, s[52:55], 0 offset:224 ; 4-byte Folded Spill
	s_nop 0
	buffer_store_dword v141, off, s[52:55], 0 offset:228 ; 4-byte Folded Spill
	v_fma_f64 v[140:141], v[156:157], s[16:17], v[140:141]
	v_add_f64 v[128:129], v[140:141], v[128:129]
	v_fma_f64 v[140:141], v[160:161], s[16:17], -v[144:145]
	v_add_f64 v[130:131], v[140:141], v[130:131]
	v_fma_f64 v[140:141], v[156:157], s[4:5], v[146:147]
	v_add_f64 v[132:133], v[140:141], v[132:133]
	v_fma_f64 v[140:141], v[160:161], s[4:5], -v[154:155]
	v_add_f64 v[134:135], v[140:141], v[134:135]
	v_mul_f64 v[140:141], v[225:226], s[28:29]
	buffer_store_dword v140, off, s[52:55], 0 offset:232 ; 4-byte Folded Spill
	s_nop 0
	buffer_store_dword v141, off, s[52:55], 0 offset:236 ; 4-byte Folded Spill
	buffer_store_dword v162, off, s[52:55], 0 offset:240 ; 4-byte Folded Spill
	s_nop 0
	buffer_store_dword v163, off, s[52:55], 0 offset:244 ; 4-byte Folded Spill
	v_fma_f64 v[140:141], v[172:173], s[24:25], v[140:141]
	v_add_f64 v[124:125], v[140:141], v[124:125]
	v_fma_f64 v[140:141], v[174:175], s[24:25], -v[162:163]
	v_mul_f64 v[162:163], v[176:177], s[40:41]
	v_add_f64 v[126:127], v[140:141], v[126:127]
	v_mul_f64 v[140:141], v[225:226], s[40:41]
	v_mov_b32_e32 v78, v140
	v_mov_b32_e32 v79, v141
	v_fma_f64 v[140:141], v[172:173], s[2:3], v[140:141]
	v_add_f64 v[128:129], v[140:141], v[128:129]
	v_fma_f64 v[140:141], v[174:175], s[2:3], -v[162:163]
	v_add_f64 v[130:131], v[140:141], v[130:131]
	v_fma_f64 v[140:141], v[172:173], s[30:31], v[166:167]
	v_add_f64 v[132:133], v[140:141], v[132:133]
	v_fma_f64 v[140:141], v[174:175], s[30:31], -v[168:169]
	v_add_f64 v[134:135], v[140:141], v[134:135]
	s_and_saveexec_b64 s[34:35], s[0:1]
	s_cbranch_execz .LBB0_5
; %bb.4:
	v_mul_f64 v[76:77], v[205:206], s[2:3]
	v_mul_f64 v[140:141], v[221:222], s[24:25]
	s_mov_b32 s49, 0x3fcea1e5
	s_mov_b32 s48, s28
	;; [unrolled: 1-line block ×4, first 2 shown]
	buffer_store_dword v76, off, s[52:55], 0 offset:320 ; 4-byte Folded Spill
	s_nop 0
	buffer_store_dword v77, off, s[52:55], 0 offset:324 ; 4-byte Folded Spill
	v_mul_f64 v[76:77], v[221:222], s[2:3]
	buffer_store_dword v76, off, s[52:55], 0 offset:336 ; 4-byte Folded Spill
	s_nop 0
	buffer_store_dword v77, off, s[52:55], 0 offset:340 ; 4-byte Folded Spill
	v_mul_f64 v[76:77], v[205:206], s[4:5]
	buffer_store_dword v76, off, s[52:55], 0 offset:328 ; 4-byte Folded Spill
	s_nop 0
	buffer_store_dword v77, off, s[52:55], 0 offset:332 ; 4-byte Folded Spill
	buffer_store_dword v142, off, s[52:55], 0 offset:304 ; 4-byte Folded Spill
	s_nop 0
	buffer_store_dword v143, off, s[52:55], 0 offset:308 ; 4-byte Folded Spill
	v_mul_f64 v[76:77], v[221:222], s[4:5]
	buffer_store_dword v181, off, s[52:55], 0 offset:352 ; 4-byte Folded Spill
	s_nop 0
	buffer_store_dword v182, off, s[52:55], 0 offset:356 ; 4-byte Folded Spill
	buffer_store_dword v183, off, s[52:55], 0 offset:376 ; 4-byte Folded Spill
	s_nop 0
	buffer_store_dword v184, off, s[52:55], 0 offset:380 ; 4-byte Folded Spill
	v_mul_f64 v[142:143], v[231:232], s[2:3]
	v_mul_f64 v[181:182], v[215:216], s[28:29]
	v_fma_f64 v[183:184], v[211:212], s[48:49], v[140:141]
	v_fma_f64 v[140:141], v[211:212], s[28:29], v[140:141]
	buffer_store_dword v76, off, s[52:55], 0 offset:464 ; 4-byte Folded Spill
	s_nop 0
	buffer_store_dword v77, off, s[52:55], 0 offset:468 ; 4-byte Folded Spill
	v_mul_f64 v[76:77], v[205:206], s[16:17]
	buffer_store_dword v76, off, s[52:55], 0 offset:440 ; 4-byte Folded Spill
	s_nop 0
	buffer_store_dword v77, off, s[52:55], 0 offset:444 ; 4-byte Folded Spill
	buffer_store_dword v185, off, s[52:55], 0 offset:392 ; 4-byte Folded Spill
	s_nop 0
	buffer_store_dword v186, off, s[52:55], 0 offset:396 ; 4-byte Folded Spill
	;; [unrolled: 3-line block ×6, first 2 shown]
	buffer_store_dword v30, off, s[52:55], 0 offset:264 ; 4-byte Folded Spill
	buffer_store_dword v31, off, s[52:55], 0 offset:268 ; 4-byte Folded Spill
	;; [unrolled: 1-line block ×3, first 2 shown]
	s_nop 0
	buffer_store_dword v248, off, s[52:55], 0 offset:276 ; 4-byte Folded Spill
	buffer_store_dword v249, off, s[52:55], 0 offset:280 ; 4-byte Folded Spill
	;; [unrolled: 1-line block ×4, first 2 shown]
	s_nop 0
	buffer_store_dword v38, off, s[52:55], 0 offset:372 ; 4-byte Folded Spill
	buffer_store_dword v20, off, s[52:55], 0 offset:288 ; 4-byte Folded Spill
	s_nop 0
	buffer_store_dword v21, off, s[52:55], 0 offset:292 ; 4-byte Folded Spill
	buffer_store_dword v22, off, s[52:55], 0 offset:296 ; 4-byte Folded Spill
	;; [unrolled: 1-line block ×3, first 2 shown]
	v_mul_f64 v[20:21], v[223:224], s[4:5]
	v_mov_b32_e32 v29, v234
	v_mul_f64 v[185:186], v[229:230], s[40:41]
	buffer_store_dword v20, off, s[52:55], 0 offset:384 ; 4-byte Folded Spill
	s_nop 0
	buffer_store_dword v21, off, s[52:55], 0 offset:388 ; 4-byte Folded Spill
	v_mul_f64 v[20:21], v[231:232], s[4:5]
	v_fma_f64 v[187:188], v[205:206], s[24:25], v[181:182]
	v_mul_f64 v[191:192], v[251:252], s[30:31]
	v_mov_b32_e32 v16, v233
	v_mov_b32_e32 v30, v235
	;; [unrolled: 1-line block ×4, first 2 shown]
	v_fma_f64 v[233:234], v[227:228], s[18:19], v[142:143]
	v_add_f64 v[183:184], v[138:139], v[183:184]
	buffer_store_dword v20, off, s[52:55], 0 offset:400 ; 4-byte Folded Spill
	s_nop 0
	buffer_store_dword v21, off, s[52:55], 0 offset:404 ; 4-byte Folded Spill
	buffer_store_dword v18, off, s[52:55], 0 offset:360 ; 4-byte Folded Spill
	s_nop 0
	buffer_store_dword v19, off, s[52:55], 0 offset:364 ; 4-byte Folded Spill
	v_mov_b32_e32 v17, v24
	v_mov_b32_e32 v18, v25
	;; [unrolled: 1-line block ×5, first 2 shown]
	buffer_store_dword v189, off, s[52:55], 0 offset:432 ; 4-byte Folded Spill
	s_nop 0
	buffer_store_dword v190, off, s[52:55], 0 offset:436 ; 4-byte Folded Spill
	v_mul_f64 v[235:236], v[193:194], s[44:45]
	v_mov_b32_e32 v22, v239
	v_mov_b32_e32 v23, v240
	;; [unrolled: 1-line block ×3, first 2 shown]
	v_fma_f64 v[237:238], v[223:224], s[2:3], v[185:186]
	v_add_f64 v[187:188], v[136:137], v[187:188]
	v_mul_f64 v[189:190], v[213:214], s[4:5]
	v_fma_f64 v[239:240], v[253:254], s[38:39], v[191:192]
	v_add_f64 v[183:184], v[233:234], v[183:184]
	v_mov_b32_e32 v27, v242
	v_mul_f64 v[233:234], v[150:151], s[46:47]
	v_mov_b32_e32 v28, v243
	v_fma_f64 v[241:242], v[245:246], s[30:31], v[235:236]
	v_add_f64 v[187:188], v[237:238], v[187:188]
	v_mul_f64 v[237:238], v[160:161], s[20:21]
	v_fma_f64 v[243:244], v[219:220], s[14:15], v[189:190]
	v_add_f64 v[183:184], v[239:240], v[183:184]
	v_mul_f64 v[25:26], v[223:224], s[20:21]
	v_mul_f64 v[239:240], v[170:171], s[26:27]
	v_fma_f64 v[247:248], v[201:202], s[4:5], v[233:234]
	v_fma_f64 v[181:182], v[205:206], s[24:25], -v[181:182]
	v_add_f64 v[187:188], v[241:242], v[187:188]
	v_mul_f64 v[241:242], v[174:175], s[16:17]
	v_fma_f64 v[249:250], v[164:165], s[36:37], v[237:238]
	v_add_f64 v[183:184], v[243:244], v[183:184]
	buffer_store_dword v25, off, s[52:55], 0 offset:424 ; 4-byte Folded Spill
	s_nop 0
	buffer_store_dword v26, off, s[52:55], 0 offset:428 ; 4-byte Folded Spill
	buffer_store_dword v195, off, s[52:55], 0 offset:408 ; 4-byte Folded Spill
	s_nop 0
	buffer_store_dword v196, off, s[52:55], 0 offset:412 ; 4-byte Folded Spill
	;; [unrolled: 3-line block ×4, first 2 shown]
	v_mul_f64 v[243:244], v[225:226], s[42:43]
	v_fma_f64 v[142:143], v[227:228], s[40:41], v[142:143]
	v_add_f64 v[140:141], v[138:139], v[140:141]
	v_fma_f64 v[195:196], v[156:157], s[20:21], v[239:240]
	v_add_f64 v[187:188], v[247:248], v[187:188]
	;; [unrolled: 2-line block ×3, first 2 shown]
	v_fma_f64 v[185:186], v[223:224], s[2:3], -v[185:186]
	v_add_f64 v[181:182], v[136:137], v[181:182]
	v_fma_f64 v[183:184], v[253:254], s[44:45], v[191:192]
	v_add_f64 v[140:141], v[142:143], v[140:141]
	v_fma_f64 v[191:192], v[172:173], s[16:17], v[243:244]
	v_add_f64 v[187:188], v[195:196], v[187:188]
	v_mul_f64 v[249:250], v[221:222], s[30:31]
	v_add_f64 v[142:143], v[0:1], v[2:3]
	v_fma_f64 v[0:1], v[245:246], s[30:31], -v[235:236]
	v_add_f64 v[2:3], v[185:186], v[181:182]
	v_fma_f64 v[189:190], v[219:220], s[46:47], v[189:190]
	v_add_f64 v[183:184], v[183:184], v[140:141]
	v_mul_f64 v[185:186], v[231:232], s[16:17]
	v_add_f64 v[140:141], v[191:192], v[187:188]
	v_fma_f64 v[181:182], v[211:212], s[38:39], v[249:250]
	v_mul_f64 v[191:192], v[215:216], s[44:45]
	v_fma_f64 v[233:234], v[201:202], s[4:5], -v[233:234]
	v_add_f64 v[0:1], v[0:1], v[2:3]
	v_fma_f64 v[187:188], v[164:165], s[26:27], v[237:238]
	v_add_f64 v[183:184], v[189:190], v[183:184]
	v_mul_f64 v[189:190], v[251:252], s[4:5]
	v_fma_f64 v[2:3], v[227:228], s[22:23], v[185:186]
	v_add_f64 v[181:182], v[138:139], v[181:182]
	v_mul_f64 v[235:236], v[229:230], s[42:43]
	v_fma_f64 v[237:238], v[205:206], s[30:31], v[191:192]
	v_fma_f64 v[239:240], v[156:157], s[20:21], -v[239:240]
	v_add_f64 v[0:1], v[233:234], v[0:1]
	buffer_store_dword v4, off, s[52:55], 0 offset:472 ; 4-byte Folded Spill
	s_nop 0
	buffer_store_dword v5, off, s[52:55], 0 offset:476 ; 4-byte Folded Spill
	buffer_store_dword v6, off, s[52:55], 0 offset:480 ; 4-byte Folded Spill
	s_nop 0
	buffer_store_dword v7, off, s[52:55], 0 offset:484 ; 4-byte Folded Spill
	v_add_f64 v[183:184], v[187:188], v[183:184]
	v_mul_f64 v[187:188], v[213:214], s[24:25]
	v_fma_f64 v[233:234], v[253:254], s[46:47], v[189:190]
	v_add_f64 v[2:3], v[2:3], v[181:182]
	v_fma_f64 v[181:182], v[223:224], s[16:17], v[235:236]
	v_add_f64 v[237:238], v[136:137], v[237:238]
	v_fma_f64 v[6:7], v[176:177], s[42:43], v[241:242]
	v_fma_f64 v[241:242], v[172:173], s[16:17], -v[243:244]
	v_add_f64 v[0:1], v[239:240], v[0:1]
	v_mul_f64 v[4:5], v[193:194], s[14:15]
	v_mul_f64 v[239:240], v[160:161], s[2:3]
	v_add_f64 v[2:3], v[233:234], v[2:3]
	v_fma_f64 v[233:234], v[219:220], s[28:29], v[187:188]
	v_add_f64 v[237:238], v[181:182], v[237:238]
	v_fma_f64 v[249:250], v[211:212], s[44:45], v[249:250]
	v_add_f64 v[183:184], v[6:7], v[183:184]
	v_add_f64 v[181:182], v[241:242], v[0:1]
	v_fma_f64 v[0:1], v[205:206], s[30:31], -v[191:192]
	v_fma_f64 v[243:244], v[245:246], s[4:5], v[4:5]
	v_mul_f64 v[6:7], v[150:151], s[48:49]
	v_fma_f64 v[191:192], v[164:165], s[18:19], v[239:240]
	v_add_f64 v[2:3], v[233:234], v[2:3]
	v_fma_f64 v[185:186], v[227:228], s[42:43], v[185:186]
	v_add_f64 v[233:234], v[138:139], v[249:250]
	v_fma_f64 v[235:236], v[223:224], s[16:17], -v[235:236]
	v_add_f64 v[0:1], v[136:137], v[0:1]
	v_mul_f64 v[76:77], v[221:222], s[16:17]
	v_add_f64 v[237:238], v[243:244], v[237:238]
	v_mul_f64 v[243:244], v[170:171], s[40:41]
	v_add_f64 v[2:3], v[191:192], v[2:3]
	v_fma_f64 v[191:192], v[201:202], s[24:25], v[6:7]
	v_add_f64 v[185:186], v[185:186], v[233:234]
	v_mul_f64 v[233:234], v[174:175], s[20:21]
	v_fma_f64 v[189:190], v[253:254], s[14:15], v[189:190]
	v_add_f64 v[0:1], v[235:236], v[0:1]
	v_fma_f64 v[4:5], v[245:246], s[4:5], -v[4:5]
	v_mul_f64 v[221:222], v[221:222], s[20:21]
	v_mul_f64 v[247:248], v[231:232], s[20:21]
	v_mul_f64 v[195:196], v[231:232], s[24:25]
	v_fma_f64 v[235:236], v[156:157], s[2:3], v[243:244]
	v_add_f64 v[191:192], v[191:192], v[237:238]
	v_mul_f64 v[237:238], v[225:226], s[26:27]
	v_fma_f64 v[187:188], v[219:220], s[48:49], v[187:188]
	v_add_f64 v[185:186], v[189:190], v[185:186]
	v_fma_f64 v[6:7], v[201:202], s[24:25], -v[6:7]
	v_add_f64 v[0:1], v[4:5], v[0:1]
	v_mul_f64 v[4:5], v[231:232], s[30:31]
	v_fma_f64 v[189:190], v[211:212], s[36:37], v[221:222]
	v_fma_f64 v[231:232], v[176:177], s[36:37], v[233:234]
	buffer_store_dword v197, off, s[52:55], 0 offset:488 ; 4-byte Folded Spill
	s_nop 0
	buffer_store_dword v198, off, s[52:55], 0 offset:492 ; 4-byte Folded Spill
	v_mov_b32_e32 v198, v9
	v_mov_b32_e32 v38, v11
	v_add_f64 v[191:192], v[235:236], v[191:192]
	v_fma_f64 v[235:236], v[172:173], s[20:21], v[237:238]
	v_add_f64 v[249:250], v[187:188], v[185:186]
	v_mov_b32_e32 v197, v8
	v_mul_f64 v[8:9], v[251:252], s[2:3]
	v_add_f64 v[0:1], v[6:7], v[0:1]
	v_fma_f64 v[6:7], v[227:228], s[44:45], v[4:5]
	v_mov_b32_e32 v37, v10
	v_add_f64 v[10:11], v[138:139], v[189:190]
	v_add_f64 v[187:188], v[231:232], v[2:3]
	v_mul_f64 v[2:3], v[215:216], s[26:27]
	v_fma_f64 v[211:212], v[211:212], s[26:27], v[221:222]
	v_fma_f64 v[215:216], v[156:157], s[2:3], -v[243:244]
	v_add_f64 v[185:186], v[235:236], v[191:192]
	v_mul_f64 v[191:192], v[213:214], s[16:17]
	v_fma_f64 v[231:232], v[253:254], s[18:19], v[8:9]
	v_add_f64 v[6:7], v[6:7], v[10:11]
	v_mul_f64 v[10:11], v[229:230], s[38:39]
	v_fma_f64 v[229:230], v[205:206], s[20:21], v[2:3]
	v_fma_f64 v[4:5], v[227:228], s[38:39], v[4:5]
	v_add_f64 v[211:212], v[138:139], v[211:212]
	v_add_f64 v[0:1], v[215:216], v[0:1]
	v_mul_f64 v[215:216], v[160:161], s[24:25]
	v_fma_f64 v[221:222], v[219:220], s[42:43], v[191:192]
	v_add_f64 v[6:7], v[231:232], v[6:7]
	v_fma_f64 v[231:232], v[223:224], s[30:31], v[10:11]
	v_add_f64 v[229:230], v[136:137], v[229:230]
	v_mul_f64 v[193:194], v[193:194], s[40:41]
	v_fma_f64 v[8:9], v[253:254], s[40:41], v[8:9]
	v_add_f64 v[4:5], v[4:5], v[211:212]
	v_mul_f64 v[150:151], v[150:151], s[22:23]
	v_fma_f64 v[191:192], v[219:220], s[22:23], v[191:192]
	v_add_f64 v[6:7], v[221:222], v[6:7]
	v_fma_f64 v[221:222], v[164:165], s[28:29], v[215:216]
	v_add_f64 v[229:230], v[231:232], v[229:230]
	v_fma_f64 v[231:232], v[245:246], s[2:3], v[193:194]
	v_fma_f64 v[189:190], v[164:165], s[40:41], v[239:240]
	v_add_f64 v[4:5], v[8:9], v[4:5]
	v_fma_f64 v[164:165], v[164:165], s[48:49], v[215:216]
	v_mul_f64 v[170:171], v[170:171], s[48:49]
	buffer_store_dword v0, off, s[52:55], 0 offset:496 ; 4-byte Folded Spill
	s_nop 0
	buffer_store_dword v1, off, s[52:55], 0 offset:500 ; 4-byte Folded Spill
	v_add_f64 v[6:7], v[221:222], v[6:7]
	buffer_load_dword v0, off, s[52:55], 0 offset:96 ; 4-byte Folded Reload
	buffer_load_dword v1, off, s[52:55], 0 offset:100 ; 4-byte Folded Reload
	v_add_f64 v[221:222], v[231:232], v[229:230]
	v_fma_f64 v[229:230], v[201:202], s[16:17], v[150:151]
	v_add_f64 v[4:5], v[191:192], v[4:5]
	v_mul_f64 v[241:242], v[245:246], s[16:17]
	v_mul_f64 v[227:228], v[245:246], s[24:25]
	;; [unrolled: 1-line block ×6, first 2 shown]
	v_add_f64 v[221:222], v[229:230], v[221:222]
	v_mul_f64 v[229:230], v[201:202], s[2:3]
	v_fma_f64 v[193:194], v[245:246], s[2:3], -v[193:194]
	v_mul_f64 v[245:246], v[156:157], s[16:17]
	v_add_f64 v[4:5], v[164:165], v[4:5]
	v_fma_f64 v[164:165], v[156:157], s[24:25], v[170:171]
	v_fma_f64 v[150:151], v[201:202], s[16:17], -v[150:151]
	v_mul_f64 v[201:202], v[156:157], s[4:5]
	v_fma_f64 v[170:171], v[156:157], s[24:25], -v[170:171]
	buffer_load_dword v156, off, s[52:55], 0 offset:104 ; 4-byte Folded Reload
	buffer_load_dword v157, off, s[52:55], 0 offset:108 ; 4-byte Folded Reload
	v_fma_f64 v[2:3], v[205:206], s[20:21], -v[2:3]
	v_fma_f64 v[10:11], v[223:224], s[30:31], -v[10:11]
	v_mul_f64 v[25:26], v[223:224], s[24:25]
	v_mul_f64 v[223:224], v[174:175], s[4:5]
	v_add_f64 v[189:190], v[189:190], v[249:250]
	v_fma_f64 v[233:234], v[176:177], s[26:27], v[233:234]
	v_mul_f64 v[225:226], v[225:226], s[46:47]
	v_mul_f64 v[235:236], v[251:252], s[16:17]
	v_add_f64 v[2:3], v[136:137], v[2:3]
	v_mul_f64 v[239:240], v[251:252], s[24:25]
	v_mul_f64 v[243:244], v[251:252], s[20:21]
	;; [unrolled: 1-line block ×3, first 2 shown]
	v_add_f64 v[221:222], v[164:165], v[221:222]
	v_mul_f64 v[164:165], v[172:173], s[2:3]
	v_mul_f64 v[253:254], v[174:175], s[2:3]
	;; [unrolled: 1-line block ×3, first 2 shown]
	v_add_f64 v[2:3], v[10:11], v[2:3]
	v_fma_f64 v[10:11], v[176:177], s[14:15], v[223:224]
	v_fma_f64 v[176:177], v[176:177], s[46:47], v[223:224]
	v_mul_f64 v[205:206], v[213:214], s[30:31]
	v_mul_f64 v[213:214], v[213:214], s[2:3]
	;; [unrolled: 1-line block ×5, first 2 shown]
	v_add_f64 v[2:3], v[193:194], v[2:3]
	v_mul_f64 v[193:194], v[172:173], s[24:25]
	v_add_f64 v[146:147], v[201:202], -v[146:147]
	v_add_f64 v[162:163], v[162:163], v[253:254]
	v_add_f64 v[209:210], v[209:210], v[213:214]
	;; [unrolled: 1-line block ×9, first 2 shown]
	s_waitcnt vmcnt(2)
	v_add_f64 v[249:250], v[0:1], v[76:77]
	v_mov_b32_e32 v0, v199
	v_mov_b32_e32 v76, v203
	;; [unrolled: 1-line block ×3, first 2 shown]
	v_mul_f64 v[199:200], v[172:173], s[30:31]
	v_mov_b32_e32 v77, v204
	v_mul_f64 v[203:204], v[174:175], s[30:31]
	v_fma_f64 v[174:175], v[172:173], s[20:21], -v[237:238]
	s_waitcnt vmcnt(0)
	v_add_f64 v[189:190], v[156:157], v[195:196]
	v_fma_f64 v[195:196], v[172:173], s[4:5], v[225:226]
	v_add_f64 v[156:157], v[176:177], v[4:5]
	v_fma_f64 v[172:173], v[172:173], s[4:5], -v[225:226]
	buffer_load_dword v176, off, s[52:55], 0 offset:72 ; 4-byte Folded Reload
	buffer_load_dword v177, off, s[52:55], 0 offset:76 ; 4-byte Folded Reload
	;; [unrolled: 1-line block ×6, first 2 shown]
	v_add_f64 v[4:5], v[138:139], v[249:250]
	v_add_f64 v[4:5], v[189:190], v[4:5]
	s_waitcnt vmcnt(2)
	v_add_f64 v[176:177], v[176:177], v[225:226]
	s_waitcnt vmcnt(0)
	v_add_f64 v[170:171], v[12:13], v[243:244]
	buffer_load_dword v12, off, s[52:55], 0 offset:440 ; 4-byte Folded Reload
	buffer_load_dword v13, off, s[52:55], 0 offset:444 ; 4-byte Folded Reload
	v_add_f64 v[225:226], v[138:139], v[14:15]
	v_add_f64 v[14:15], v[168:169], v[203:204]
	;; [unrolled: 1-line block ×7, first 2 shown]
	s_waitcnt vmcnt(0)
	v_add_f64 v[237:238], v[12:13], -v[27:28]
	buffer_load_dword v12, off, s[52:55], 0 offset:80 ; 4-byte Folded Reload
	buffer_load_dword v13, off, s[52:55], 0 offset:84 ; 4-byte Folded Reload
	v_add_f64 v[237:238], v[136:137], v[237:238]
	s_waitcnt vmcnt(0)
	v_add_f64 v[189:190], v[12:13], v[247:248]
	buffer_load_dword v12, off, s[52:55], 0 offset:88 ; 4-byte Folded Reload
	buffer_load_dword v13, off, s[52:55], 0 offset:92 ; 4-byte Folded Reload
	v_add_f64 v[176:177], v[189:190], v[176:177]
	s_waitcnt vmcnt(0)
	v_add_f64 v[213:214], v[25:26], -v[12:13]
	buffer_load_dword v12, off, s[52:55], 0 offset:136 ; 4-byte Folded Reload
	buffer_load_dword v13, off, s[52:55], 0 offset:140 ; 4-byte Folded Reload
	s_waitcnt vmcnt(0)
	v_add_f64 v[170:171], v[12:13], v[239:240]
	buffer_load_dword v12, off, s[52:55], 0 offset:480 ; 4-byte Folded Reload
	buffer_load_dword v13, off, s[52:55], 0 offset:484 ; 4-byte Folded Reload
	v_add_f64 v[170:171], v[170:171], v[176:177]
	s_waitcnt vmcnt(0)
	v_add_f64 v[189:190], v[225:226], v[12:13]
	buffer_load_dword v12, off, s[52:55], 0 offset:472 ; 4-byte Folded Reload
	buffer_load_dword v13, off, s[52:55], 0 offset:476 ; 4-byte Folded Reload
	s_waitcnt vmcnt(0)
	v_add_f64 v[225:226], v[233:234], v[12:13]
	buffer_load_dword v12, off, s[52:55], 0 offset:144 ; 4-byte Folded Reload
	buffer_load_dword v13, off, s[52:55], 0 offset:148 ; 4-byte Folded Reload
	v_mov_b32_e32 v233, v16
	s_waitcnt vmcnt(0)
	v_add_f64 v[160:161], v[211:212], -v[12:13]
	buffer_load_dword v12, off, s[52:55], 0 offset:184 ; 4-byte Folded Reload
	buffer_load_dword v13, off, s[52:55], 0 offset:188 ; 4-byte Folded Reload
	v_add_f64 v[211:212], v[213:214], v[237:238]
	v_add_f64 v[160:161], v[160:161], v[211:212]
	s_waitcnt vmcnt(0)
	v_add_f64 v[197:198], v[12:13], v[205:206]
	buffer_load_dword v12, off, s[52:55], 0 offset:448 ; 4-byte Folded Reload
	buffer_load_dword v13, off, s[52:55], 0 offset:452 ; 4-byte Folded Reload
	v_add_f64 v[154:155], v[197:198], v[170:171]
	v_add_f64 v[144:145], v[144:145], v[154:155]
	s_waitcnt vmcnt(0)
	v_add_f64 v[176:177], v[189:190], v[12:13]
	buffer_load_dword v12, off, s[52:55], 0 offset:456 ; 4-byte Folded Reload
	buffer_load_dword v13, off, s[52:55], 0 offset:460 ; 4-byte Folded Reload
	s_waitcnt vmcnt(0)
	v_add_f64 v[189:190], v[225:226], v[12:13]
	buffer_load_dword v12, off, s[52:55], 0 offset:200 ; 4-byte Folded Reload
	buffer_load_dword v13, off, s[52:55], 0 offset:204 ; 4-byte Folded Reload
	s_waitcnt vmcnt(0)
	v_add_f64 v[168:169], v[229:230], -v[12:13]
	buffer_load_dword v12, off, s[52:55], 0 offset:432 ; 4-byte Folded Reload
	buffer_load_dword v13, off, s[52:55], 0 offset:436 ; 4-byte Folded Reload
	v_add_f64 v[160:161], v[168:169], v[160:161]
	s_waitcnt vmcnt(0)
	v_add_f64 v[170:171], v[176:177], v[12:13]
	buffer_load_dword v12, off, s[52:55], 0 offset:416 ; 4-byte Folded Reload
	buffer_load_dword v13, off, s[52:55], 0 offset:420 ; 4-byte Folded Reload
	;; [unrolled: 1-line block ×4, first 2 shown]
	s_waitcnt vmcnt(2)
	v_add_f64 v[176:177], v[189:190], v[12:13]
	v_add_f64 v[12:13], v[199:200], -v[166:167]
	s_waitcnt vmcnt(0)
	v_add_f64 v[166:167], v[152:153], v[25:26]
	buffer_load_dword v25, off, s[52:55], 0 offset:392 ; 4-byte Folded Reload
	buffer_load_dword v26, off, s[52:55], 0 offset:396 ; 4-byte Folded Reload
	v_add_f64 v[138:139], v[138:139], v[166:167]
	s_waitcnt vmcnt(0)
	v_add_f64 v[154:155], v[170:171], v[25:26]
	buffer_load_dword v25, off, s[52:55], 0 offset:376 ; 4-byte Folded Reload
	buffer_load_dword v26, off, s[52:55], 0 offset:380 ; 4-byte Folded Reload
	s_waitcnt vmcnt(0)
	v_add_f64 v[168:169], v[176:177], v[25:26]
	buffer_load_dword v25, off, s[52:55], 0 offset:320 ; 4-byte Folded Reload
	buffer_load_dword v26, off, s[52:55], 0 offset:324 ; 4-byte Folded Reload
	s_waitcnt vmcnt(0)
	v_add_f64 v[170:171], v[25:26], -v[148:149]
	buffer_load_dword v25, off, s[52:55], 0 offset:328 ; 4-byte Folded Reload
	buffer_load_dword v26, off, s[52:55], 0 offset:332 ; 4-byte Folded Reload
	v_add_f64 v[170:171], v[136:137], v[170:171]
	s_waitcnt vmcnt(0)
	v_add_f64 v[176:177], v[25:26], -v[158:159]
	buffer_load_dword v27, off, s[52:55], 0 offset:64 ; 4-byte Folded Reload
	buffer_load_dword v28, off, s[52:55], 0 offset:68 ; 4-byte Folded Reload
	;; [unrolled: 1-line block ×4, first 2 shown]
	v_add_f64 v[136:137], v[136:137], v[176:177]
	s_waitcnt vmcnt(0)
	v_add_f64 v[189:190], v[25:26], -v[27:28]
	buffer_load_dword v25, off, s[52:55], 0 offset:248 ; 4-byte Folded Reload
	buffer_load_dword v26, off, s[52:55], 0 offset:252 ; 4-byte Folded Reload
	;; [unrolled: 1-line block ×4, first 2 shown]
	v_add_f64 v[136:137], v[189:190], v[136:137]
	s_waitcnt vmcnt(0)
	v_add_f64 v[197:198], v[25:26], v[27:28]
	buffer_load_dword v25, off, s[52:55], 0 offset:192 ; 4-byte Folded Reload
	buffer_load_dword v26, off, s[52:55], 0 offset:196 ; 4-byte Folded Reload
	;; [unrolled: 1-line block ×4, first 2 shown]
	v_add_f64 v[138:139], v[197:198], v[138:139]
	s_waitcnt vmcnt(0)
	v_add_f64 v[166:167], v[27:28], -v[25:26]
	buffer_load_dword v25, off, s[52:55], 0 offset:352 ; 4-byte Folded Reload
	buffer_load_dword v26, off, s[52:55], 0 offset:356 ; 4-byte Folded Reload
	v_add_f64 v[166:167], v[166:167], v[170:171]
	s_waitcnt vmcnt(0)
	v_add_f64 v[154:155], v[154:155], v[25:26]
	buffer_load_dword v25, off, s[52:55], 0 offset:368 ; 4-byte Folded Reload
	buffer_load_dword v26, off, s[52:55], 0 offset:372 ; 4-byte Folded Reload
	s_waitcnt vmcnt(0)
	v_add_f64 v[168:169], v[168:169], v[25:26]
	buffer_load_dword v25, off, s[52:55], 0 offset:128 ; 4-byte Folded Reload
	buffer_load_dword v26, off, s[52:55], 0 offset:132 ; 4-byte Folded Reload
	s_waitcnt vmcnt(0)
	v_add_f64 v[176:177], v[227:228], -v[25:26]
	buffer_load_dword v25, off, s[52:55], 0 offset:120 ; 4-byte Folded Reload
	buffer_load_dword v26, off, s[52:55], 0 offset:124 ; 4-byte Folded Reload
	v_add_f64 v[136:137], v[176:177], v[136:137]
	s_waitcnt vmcnt(0)
	v_add_f64 v[199:200], v[25:26], v[235:236]
	buffer_load_dword v25, off, s[52:55], 0 offset:112 ; 4-byte Folded Reload
	buffer_load_dword v26, off, s[52:55], 0 offset:116 ; 4-byte Folded Reload
	v_mov_b32_e32 v237, v32
	v_mov_b32_e32 v236, v31
	;; [unrolled: 1-line block ×4, first 2 shown]
	v_add_f64 v[138:139], v[199:200], v[138:139]
	s_waitcnt vmcnt(0)
	v_add_f64 v[197:198], v[241:242], -v[25:26]
	v_mov_b32_e32 v241, v24
	v_mov_b32_e32 v240, v23
	;; [unrolled: 1-line block ×8, first 2 shown]
	buffer_load_dword v20, off, s[52:55], 0 offset:288 ; 4-byte Folded Reload
	buffer_load_dword v21, off, s[52:55], 0 offset:292 ; 4-byte Folded Reload
	;; [unrolled: 1-line block ×14, first 2 shown]
	v_add_f64 v[166:167], v[197:198], v[166:167]
	s_waitcnt vmcnt(0)
	v_add_f64 v[154:155], v[154:155], v[16:17]
	buffer_load_dword v16, off, s[52:55], 0 offset:344 ; 4-byte Folded Reload
	buffer_load_dword v17, off, s[52:55], 0 offset:348 ; 4-byte Folded Reload
	v_add_f64 v[154:155], v[154:155], v[217:218]
	v_add_f64 v[154:155], v[154:155], v[76:77]
	s_waitcnt vmcnt(0)
	v_add_f64 v[168:169], v[168:169], v[16:17]
	buffer_load_dword v16, off, s[52:55], 0 offset:176 ; 4-byte Folded Reload
	buffer_load_dword v17, off, s[52:55], 0 offset:180 ; 4-byte Folded Reload
	v_add_f64 v[168:169], v[168:169], v[207:208]
	v_add_f64 v[168:169], v[168:169], v[0:1]
	s_waitcnt vmcnt(0)
	v_add_f64 v[8:9], v[8:9], -v[16:17]
	buffer_load_dword v16, off, s[52:55], 0 offset:168 ; 4-byte Folded Reload
	buffer_load_dword v17, off, s[52:55], 0 offset:172 ; 4-byte Folded Reload
	v_add_f64 v[8:9], v[8:9], v[136:137]
	v_add_f64 v[136:137], v[164:165], -v[78:79]
	s_waitcnt vmcnt(0)
	v_add_f64 v[170:171], v[16:17], v[219:220]
	buffer_load_dword v16, off, s[52:55], 0 offset:160 ; 4-byte Folded Reload
	buffer_load_dword v17, off, s[52:55], 0 offset:164 ; 4-byte Folded Reload
	v_add_f64 v[138:139], v[170:171], v[138:139]
	s_waitcnt vmcnt(0)
	v_add_f64 v[189:190], v[231:232], -v[16:17]
	buffer_load_dword v16, off, s[52:55], 0 offset:224 ; 4-byte Folded Reload
	buffer_load_dword v17, off, s[52:55], 0 offset:228 ; 4-byte Folded Reload
	v_add_f64 v[166:167], v[189:190], v[166:167]
	s_waitcnt vmcnt(0)
	v_add_f64 v[176:177], v[245:246], -v[16:17]
	buffer_load_dword v16, off, s[52:55], 0 offset:216 ; 4-byte Folded Reload
	buffer_load_dword v17, off, s[52:55], 0 offset:220 ; 4-byte Folded Reload
	v_add_f64 v[8:9], v[176:177], v[8:9]
	s_waitcnt vmcnt(0)
	v_add_f64 v[191:192], v[16:17], v[191:192]
	buffer_load_dword v16, off, s[52:55], 0 offset:208 ; 4-byte Folded Reload
	buffer_load_dword v17, off, s[52:55], 0 offset:212 ; 4-byte Folded Reload
	;; [unrolled: 1-line block ×4, first 2 shown]
	v_add_f64 v[158:159], v[191:192], v[138:139]
	v_add_f64 v[138:139], v[14:15], v[4:5]
	s_waitcnt vmcnt(2)
	v_add_f64 v[170:171], v[215:216], -v[16:17]
	s_waitcnt vmcnt(0)
	v_add_f64 v[152:153], v[0:1], v[251:252]
	buffer_load_dword v0, off, s[52:55], 0 offset:232 ; 4-byte Folded Reload
	buffer_load_dword v1, off, s[52:55], 0 offset:236 ; 4-byte Folded Reload
	v_add_f64 v[166:167], v[170:171], v[166:167]
	v_add_f64 v[170:171], v[146:147], v[160:161]
	;; [unrolled: 1-line block ×6, first 2 shown]
	s_waitcnt vmcnt(0)
	v_add_f64 v[148:149], v[193:194], -v[0:1]
	buffer_load_dword v0, off, s[52:55], 0 offset:488 ; 4-byte Folded Reload
	buffer_load_dword v1, off, s[52:55], 0 offset:492 ; 4-byte Folded Reload
	v_add_f64 v[158:159], v[148:149], v[166:167]
	v_add_f64 v[166:167], v[195:196], v[221:222]
	s_waitcnt vmcnt(0)
	v_add_f64 v[154:155], v[154:155], v[0:1]
	buffer_load_dword v0, off, s[52:55], 0 offset:408 ; 4-byte Folded Reload
	buffer_load_dword v1, off, s[52:55], 0 offset:412 ; 4-byte Folded Reload
	s_waitcnt vmcnt(0)
	v_add_f64 v[168:169], v[168:169], v[0:1]
	buffer_load_dword v0, off, s[52:55], 0 offset:304 ; 4-byte Folded Reload
	buffer_load_dword v1, off, s[52:55], 0 offset:308 ; 4-byte Folded Reload
	;; [unrolled: 4-line block ×3, first 2 shown]
	v_add_f64 v[154:155], v[172:173], v[2:3]
	s_waitcnt vmcnt(0)
	v_add_f64 v[162:163], v[168:169], v[0:1]
	buffer_load_dword v0, off, s[52:55], 0 offset:496 ; 4-byte Folded Reload
	buffer_load_dword v1, off, s[52:55], 0 offset:500 ; 4-byte Folded Reload
	v_add_f64 v[168:169], v[10:11], v[6:7]
	s_waitcnt vmcnt(0)
	v_add_f64 v[148:149], v[174:175], v[0:1]
	ds_write_b128 v255, v[162:165]
	ds_write_b128 v255, v[158:161] offset:1600
	ds_write_b128 v255, v[144:147] offset:3200
	;; [unrolled: 1-line block ×12, first 2 shown]
.LBB0_5:
	s_or_b64 exec, exec, s[34:35]
	v_mov_b32_e32 v0, s13
	v_addc_co_u32_e32 v5, vcc, 0, v0, vcc
	s_movk_i32 s2, 0x5140
	v_add_co_u32_e32 v0, vcc, s2, v178
	s_movk_i32 s4, 0x5000
	s_mov_b64 s[2:3], vcc
	v_add_co_u32_e32 v1, vcc, s4, v178
	s_movk_i32 s4, 0x6000
	v_add_co_u32_e64 v2, s[4:5], s4, v178
	v_addc_co_u32_e64 v3, s[4:5], 0, v5, s[4:5]
	s_movk_i32 s4, 0x7000
	s_waitcnt vmcnt(0) lgkmcnt(0)
	s_barrier
	global_load_dwordx4 v[136:139], v[2:3], off offset:384
	global_load_dwordx4 v[140:143], v[2:3], off offset:2464
	v_add_co_u32_e64 v2, s[4:5], s4, v178
	v_addc_co_u32_e64 v3, s[4:5], 0, v5, s[4:5]
	s_mov_b32 s4, 0x8000
	global_load_dwordx4 v[144:147], v[2:3], off offset:448
	global_load_dwordx4 v[148:151], v[2:3], off offset:2528
	v_add_co_u32_e64 v2, s[4:5], s4, v178
	v_addc_co_u32_e64 v3, s[4:5], 0, v5, s[4:5]
	s_mov_b32 s4, 0x9000
	global_load_dwordx4 v[152:155], v[2:3], off offset:512
	global_load_dwordx4 v[156:159], v[2:3], off offset:2592
	v_add_co_u32_e64 v3, s[4:5], s4, v178
	v_addc_co_u32_e64 v4, s[4:5], 0, v5, s[4:5]
	global_load_dwordx4 v[160:163], v[3:4], off offset:576
	v_addc_co_u32_e32 v2, vcc, 0, v5, vcc
	global_load_dwordx4 v[164:167], v[3:4], off offset:2656
	global_load_dwordx4 v[168:171], v[1:2], off offset:320
	v_addc_co_u32_e64 v1, vcc, 0, v5, s[2:3]
	global_load_dwordx4 v[172:175], v[0:1], off offset:2080
	ds_read_b128 v[181:184], v255
	ds_read_b128 v[185:188], v255 offset:2080
	ds_read_b128 v[189:192], v255 offset:4160
	;; [unrolled: 1-line block ×9, first 2 shown]
	s_mov_b32 s2, 0x134454ff
	s_mov_b32 s3, 0xbfee6f0e
	s_mov_b32 s5, 0x3fee6f0e
	s_mov_b32 s4, s2
	s_mov_b32 s14, 0x4755a5e
	s_mov_b32 s15, 0xbfe2cf23
	s_mov_b32 s13, 0x3fe2cf23
	s_mov_b32 s12, s14
	s_mov_b32 s16, 0x372fe950
	s_mov_b32 s17, 0x3fd3c6ef
	s_mov_b32 s20, 0x9b97f4a8
	s_mov_b32 s21, 0x3fe9e377
	s_mov_b32 s19, 0xbfd3c6ef
	s_mov_b32 s18, s16
	s_mov_b32 s23, 0xbfe9e377
	s_mov_b32 s22, s20
	s_waitcnt vmcnt(9) lgkmcnt(7)
	v_mul_f64 v[0:1], v[191:192], v[138:139]
	v_mul_f64 v[2:3], v[189:190], v[138:139]
	s_waitcnt vmcnt(8) lgkmcnt(6)
	v_mul_f64 v[4:5], v[195:196], v[142:143]
	v_mul_f64 v[6:7], v[193:194], v[142:143]
	;; [unrolled: 3-line block ×4, first 2 shown]
	v_fma_f64 v[176:177], v[191:192], v[136:137], v[2:3]
	v_fma_f64 v[138:139], v[195:196], v[140:141], v[6:7]
	s_waitcnt vmcnt(5) lgkmcnt(3)
	v_mul_f64 v[150:151], v[207:208], v[154:155]
	v_mul_f64 v[154:155], v[205:206], v[154:155]
	s_waitcnt vmcnt(4) lgkmcnt(2)
	v_mul_f64 v[221:222], v[211:212], v[158:159]
	v_mul_f64 v[158:159], v[209:210], v[158:159]
	v_fma_f64 v[142:143], v[199:200], v[144:145], v[10:11]
	v_fma_f64 v[146:147], v[203:204], v[148:149], v[14:15]
	s_waitcnt vmcnt(3) lgkmcnt(1)
	v_mul_f64 v[223:224], v[215:216], v[162:163]
	v_mul_f64 v[162:163], v[213:214], v[162:163]
	s_waitcnt vmcnt(2) lgkmcnt(0)
	v_mul_f64 v[225:226], v[219:220], v[166:167]
	v_mul_f64 v[227:228], v[217:218], v[166:167]
	s_waitcnt vmcnt(1)
	v_mul_f64 v[166:167], v[183:184], v[170:171]
	v_mul_f64 v[170:171], v[181:182], v[170:171]
	s_waitcnt vmcnt(0)
	v_mul_f64 v[229:230], v[187:188], v[174:175]
	v_mul_f64 v[231:232], v[185:186], v[174:175]
	v_fma_f64 v[174:175], v[189:190], v[136:137], -v[0:1]
	v_fma_f64 v[136:137], v[193:194], v[140:141], -v[4:5]
	;; [unrolled: 1-line block ×5, first 2 shown]
	v_fma_f64 v[168:169], v[183:184], v[168:169], v[170:171]
	v_fma_f64 v[170:171], v[185:186], v[172:173], -v[229:230]
	v_fma_f64 v[172:173], v[187:188], v[172:173], v[231:232]
	v_fma_f64 v[148:149], v[205:206], v[152:153], -v[150:151]
	;; [unrolled: 2-line block ×5, first 2 shown]
	v_fma_f64 v[162:163], v[219:220], v[164:165], v[227:228]
	ds_write_b128 v255, v[174:177] offset:4160
	ds_write_b128 v255, v[166:169]
	ds_write_b128 v255, v[170:173] offset:2080
	ds_write_b128 v255, v[136:139] offset:6240
	;; [unrolled: 1-line block ×8, first 2 shown]
	s_waitcnt lgkmcnt(0)
	s_barrier
	ds_read_b128 v[136:139], v255 offset:4160
	ds_read_b128 v[140:143], v255
	ds_read_b128 v[144:147], v255 offset:2080
	ds_read_b128 v[148:151], v255 offset:6240
	;; [unrolled: 1-line block ×8, first 2 shown]
	s_waitcnt lgkmcnt(8)
	v_add_f64 v[0:1], v[140:141], v[136:137]
	s_waitcnt lgkmcnt(4)
	v_add_f64 v[2:3], v[152:153], v[156:157]
	v_add_f64 v[12:13], v[136:137], -v[152:153]
	s_waitcnt lgkmcnt(1)
	v_add_f64 v[4:5], v[138:139], -v[170:171]
	v_add_f64 v[6:7], v[136:137], v[168:169]
	v_add_f64 v[14:15], v[168:169], -v[156:157]
	v_add_f64 v[10:11], v[154:155], -v[158:159]
	;; [unrolled: 1-line block ×3, first 2 shown]
	v_add_f64 v[0:1], v[0:1], v[152:153]
	v_fma_f64 v[2:3], v[2:3], -0.5, v[140:141]
	v_add_f64 v[181:182], v[156:157], -v[168:169]
	v_add_f64 v[183:184], v[142:143], v[138:139]
	v_fma_f64 v[6:7], v[6:7], -0.5, v[140:141]
	v_add_f64 v[12:13], v[12:13], v[14:15]
	v_add_f64 v[14:15], v[154:155], v[158:159]
	v_add_f64 v[136:137], v[136:137], -v[168:169]
	v_add_f64 v[0:1], v[0:1], v[156:157]
	v_fma_f64 v[8:9], v[4:5], s[2:3], v[2:3]
	v_fma_f64 v[2:3], v[4:5], s[4:5], v[2:3]
	v_add_f64 v[152:153], v[152:153], -v[156:157]
	v_fma_f64 v[140:141], v[10:11], s[4:5], v[6:7]
	v_fma_f64 v[6:7], v[10:11], s[2:3], v[6:7]
	v_fma_f64 v[14:15], v[14:15], -0.5, v[142:143]
	v_add_f64 v[156:157], v[138:139], -v[154:155]
	v_add_f64 v[0:1], v[0:1], v[168:169]
	v_fma_f64 v[8:9], v[10:11], s[14:15], v[8:9]
	v_fma_f64 v[2:3], v[10:11], s[12:13], v[2:3]
	v_add_f64 v[10:11], v[183:184], v[154:155]
	s_waitcnt lgkmcnt(0)
	v_add_f64 v[183:184], v[148:149], v[172:173]
	v_add_f64 v[185:186], v[162:163], v[166:167]
	v_fma_f64 v[168:169], v[136:137], s[4:5], v[14:15]
	v_fma_f64 v[14:15], v[136:137], s[2:3], v[14:15]
	v_add_f64 v[187:188], v[150:151], -v[162:163]
	v_fma_f64 v[8:9], v[12:13], s[16:17], v[8:9]
	v_fma_f64 v[2:3], v[12:13], s[16:17], v[2:3]
	;; [unrolled: 1-line block ×3, first 2 shown]
	v_add_f64 v[140:141], v[176:177], v[181:182]
	v_add_f64 v[176:177], v[170:171], -v[158:159]
	v_add_f64 v[181:182], v[138:139], v[170:171]
	v_fma_f64 v[4:5], v[4:5], s[12:13], v[6:7]
	v_add_f64 v[6:7], v[10:11], v[158:159]
	v_fma_f64 v[168:169], v[152:153], s[12:13], v[168:169]
	v_fma_f64 v[14:15], v[152:153], s[14:15], v[14:15]
	v_add_f64 v[138:139], v[154:155], -v[138:139]
	v_fma_f64 v[10:11], v[140:141], s[16:17], v[12:13]
	v_add_f64 v[12:13], v[160:161], v[164:165]
	v_add_f64 v[156:157], v[156:157], v[176:177]
	v_fma_f64 v[142:143], v[181:182], -0.5, v[142:143]
	v_fma_f64 v[4:5], v[140:141], s[16:17], v[4:5]
	v_add_f64 v[140:141], v[144:145], v[148:149]
	v_add_f64 v[176:177], v[150:151], -v[174:175]
	v_add_f64 v[154:155], v[158:159], -v[170:171]
	v_add_f64 v[6:7], v[6:7], v[170:171]
	v_fma_f64 v[12:13], v[12:13], -0.5, v[144:145]
	v_fma_f64 v[181:182], v[156:157], s[16:17], v[168:169]
	v_fma_f64 v[14:15], v[156:157], s[16:17], v[14:15]
	;; [unrolled: 1-line block ×4, first 2 shown]
	v_add_f64 v[140:141], v[140:141], v[160:161]
	v_add_f64 v[158:159], v[162:163], -v[166:167]
	v_add_f64 v[168:169], v[148:149], -v[160:161]
	v_fma_f64 v[152:153], v[176:177], s[2:3], v[12:13]
	v_add_f64 v[170:171], v[172:173], -v[164:165]
	v_add_f64 v[138:139], v[138:139], v[154:155]
	v_fma_f64 v[156:157], v[136:137], s[12:13], v[156:157]
	v_fma_f64 v[136:137], v[136:137], s[14:15], v[142:143]
	v_add_f64 v[140:141], v[140:141], v[164:165]
	v_fma_f64 v[144:145], v[183:184], -0.5, v[144:145]
	v_fma_f64 v[154:155], v[185:186], -0.5, v[146:147]
	v_fma_f64 v[142:143], v[158:159], s[14:15], v[152:153]
	v_add_f64 v[152:153], v[168:169], v[170:171]
	v_add_f64 v[168:169], v[148:149], -v[172:173]
	v_fma_f64 v[12:13], v[176:177], s[4:5], v[12:13]
	v_fma_f64 v[183:184], v[138:139], s[16:17], v[136:137]
	v_add_f64 v[136:137], v[150:151], v[174:175]
	v_fma_f64 v[170:171], v[138:139], s[16:17], v[156:157]
	v_add_f64 v[156:157], v[140:141], v[172:173]
	v_add_f64 v[185:186], v[160:161], -v[164:165]
	v_fma_f64 v[140:141], v[152:153], s[16:17], v[142:143]
	v_fma_f64 v[142:143], v[168:169], s[4:5], v[154:155]
	v_add_f64 v[189:190], v[174:175], -v[166:167]
	v_fma_f64 v[138:139], v[158:159], s[4:5], v[144:145]
	v_fma_f64 v[136:137], v[136:137], -0.5, v[146:147]
	v_add_f64 v[146:147], v[146:147], v[150:151]
	v_fma_f64 v[12:13], v[158:159], s[12:13], v[12:13]
	v_add_f64 v[148:149], v[160:161], -v[148:149]
	v_add_f64 v[160:161], v[164:165], -v[172:173]
	v_fma_f64 v[144:145], v[158:159], s[2:3], v[144:145]
	v_fma_f64 v[142:143], v[185:186], s[12:13], v[142:143]
	v_add_f64 v[158:159], v[187:188], v[189:190]
	v_fma_f64 v[164:165], v[185:186], s[2:3], v[136:137]
	v_add_f64 v[150:151], v[162:163], -v[150:151]
	v_add_f64 v[172:173], v[166:167], -v[174:175]
	v_fma_f64 v[136:137], v[185:186], s[4:5], v[136:137]
	v_add_f64 v[146:147], v[146:147], v[162:163]
	v_fma_f64 v[154:155], v[168:169], s[2:3], v[154:155]
	v_fma_f64 v[138:139], v[176:177], s[14:15], v[138:139]
	v_add_f64 v[148:149], v[148:149], v[160:161]
	v_fma_f64 v[144:145], v[176:177], s[12:13], v[144:145]
	v_fma_f64 v[142:143], v[158:159], s[16:17], v[142:143]
	;; [unrolled: 1-line block ×3, first 2 shown]
	v_add_f64 v[150:151], v[150:151], v[172:173]
	v_fma_f64 v[136:137], v[168:169], s[14:15], v[136:137]
	v_add_f64 v[146:147], v[146:147], v[166:167]
	v_fma_f64 v[154:155], v[185:186], s[14:15], v[154:155]
	v_fma_f64 v[12:13], v[152:153], s[16:17], v[12:13]
	;; [unrolled: 1-line block ×4, first 2 shown]
	v_mul_f64 v[148:149], v[142:143], s[14:15]
	v_fma_f64 v[152:153], v[150:151], s[16:17], v[160:161]
	v_fma_f64 v[150:151], v[150:151], s[16:17], v[136:137]
	v_add_f64 v[162:163], v[146:147], v[174:175]
	v_fma_f64 v[146:147], v[158:159], s[16:17], v[154:155]
	v_mul_f64 v[164:165], v[140:141], s[12:13]
	v_add_f64 v[136:137], v[0:1], v[156:157]
	v_add_f64 v[156:157], v[0:1], -v[156:157]
	v_fma_f64 v[158:159], v[140:141], s[20:21], v[148:149]
	v_mul_f64 v[148:149], v[152:153], s[2:3]
	v_mul_f64 v[152:153], v[152:153], s[16:17]
	;; [unrolled: 1-line block ×6, first 2 shown]
	v_fma_f64 v[174:175], v[142:143], s[20:21], v[164:165]
	v_add_f64 v[140:141], v[8:9], v[158:159]
	v_fma_f64 v[166:167], v[138:139], s[16:17], v[148:149]
	v_fma_f64 v[176:177], v[138:139], s[4:5], v[152:153]
	;; [unrolled: 1-line block ×6, first 2 shown]
	v_add_f64 v[138:139], v[6:7], v[162:163]
	v_add_f64 v[142:143], v[181:182], v[174:175]
	;; [unrolled: 1-line block ×8, first 2 shown]
	v_add_f64 v[160:161], v[8:9], -v[158:159]
	v_add_f64 v[158:159], v[6:7], -v[162:163]
	;; [unrolled: 1-line block ×9, first 2 shown]
	s_barrier
	ds_write_b128 v179, v[136:139]
	ds_write_b128 v179, v[140:143] offset:16
	ds_write_b128 v179, v[144:147] offset:32
	;; [unrolled: 1-line block ×9, first 2 shown]
	s_waitcnt lgkmcnt(0)
	s_barrier
	ds_read_b128 v[136:139], v255 offset:2080
	ds_read_b128 v[140:143], v255
	ds_read_b128 v[144:147], v255 offset:4160
	ds_read_b128 v[148:151], v255 offset:6240
	;; [unrolled: 1-line block ×6, first 2 shown]
	s_waitcnt lgkmcnt(7)
	v_mul_f64 v[0:1], v[50:51], v[138:139]
	v_mul_f64 v[2:3], v[50:51], v[136:137]
	s_waitcnt lgkmcnt(3)
	v_mul_f64 v[8:9], v[54:55], v[154:155]
	s_waitcnt lgkmcnt(1)
	v_mul_f64 v[10:11], v[62:63], v[162:163]
	ds_read_b128 v[168:171], v255 offset:16640
	ds_read_b128 v[172:175], v255 offset:18720
	v_mul_f64 v[4:5], v[46:47], v[146:147]
	v_mul_f64 v[6:7], v[46:47], v[144:145]
	;; [unrolled: 1-line block ×3, first 2 shown]
	v_fma_f64 v[0:1], v[48:49], v[136:137], v[0:1]
	v_fma_f64 v[2:3], v[48:49], v[138:139], -v[2:3]
	v_mul_f64 v[14:15], v[42:43], v[148:149]
	v_mul_f64 v[42:43], v[54:55], v[152:153]
	v_fma_f64 v[8:9], v[52:53], v[152:153], v[8:9]
	v_fma_f64 v[10:11], v[60:61], v[160:161], v[10:11]
	s_waitcnt lgkmcnt(1)
	v_mul_f64 v[46:47], v[70:71], v[168:169]
	v_mul_f64 v[48:49], v[70:71], v[170:171]
	v_fma_f64 v[4:5], v[44:45], v[144:145], v[4:5]
	v_fma_f64 v[6:7], v[44:45], v[146:147], -v[6:7]
	v_mul_f64 v[44:45], v[58:59], v[158:159]
	v_fma_f64 v[12:13], v[40:41], v[148:149], v[12:13]
	v_fma_f64 v[14:15], v[40:41], v[150:151], -v[14:15]
	v_fma_f64 v[40:41], v[52:53], v[154:155], -v[42:43]
	v_mul_f64 v[42:43], v[58:59], v[156:157]
	v_add_f64 v[50:51], v[8:9], v[10:11]
	v_fma_f64 v[46:47], v[68:69], v[170:171], -v[46:47]
	v_mul_f64 v[52:53], v[62:63], v[160:161]
	v_mul_f64 v[54:55], v[66:67], v[166:167]
	;; [unrolled: 1-line block ×3, first 2 shown]
	v_fma_f64 v[48:49], v[68:69], v[168:169], v[48:49]
	v_fma_f64 v[44:45], v[56:57], v[156:157], v[44:45]
	v_fma_f64 v[42:43], v[56:57], v[158:159], -v[42:43]
	v_add_f64 v[56:57], v[140:141], v[4:5]
	v_fma_f64 v[50:51], v[50:51], -0.5, v[140:141]
	v_add_f64 v[62:63], v[6:7], -v[46:47]
	v_fma_f64 v[52:53], v[60:61], v[162:163], -v[52:53]
	v_fma_f64 v[54:55], v[64:65], v[164:165], v[54:55]
	v_fma_f64 v[58:59], v[64:65], v[166:167], -v[58:59]
	s_waitcnt lgkmcnt(0)
	v_mul_f64 v[60:61], v[74:75], v[174:175]
	v_add_f64 v[64:65], v[4:5], v[48:49]
	v_mul_f64 v[66:67], v[74:75], v[172:173]
	v_add_f64 v[56:57], v[56:57], v[8:9]
	v_fma_f64 v[68:69], v[62:63], s[2:3], v[50:51]
	v_add_f64 v[70:71], v[40:41], -v[52:53]
	v_add_f64 v[74:75], v[4:5], -v[8:9]
	;; [unrolled: 1-line block ×3, first 2 shown]
	v_fma_f64 v[50:51], v[62:63], s[4:5], v[50:51]
	v_fma_f64 v[64:65], v[64:65], -0.5, v[140:141]
	v_fma_f64 v[60:61], v[72:73], v[172:173], v[60:61]
	v_fma_f64 v[66:67], v[72:73], v[174:175], -v[66:67]
	v_add_f64 v[72:73], v[40:41], v[52:53]
	v_add_f64 v[56:57], v[56:57], v[10:11]
	v_fma_f64 v[68:69], v[70:71], s[14:15], v[68:69]
	v_add_f64 v[74:75], v[74:75], v[136:137]
	v_fma_f64 v[50:51], v[70:71], s[12:13], v[50:51]
	v_fma_f64 v[136:137], v[70:71], s[4:5], v[64:65]
	v_add_f64 v[138:139], v[8:9], -v[4:5]
	v_add_f64 v[140:141], v[10:11], -v[48:49]
	v_add_f64 v[144:145], v[142:143], v[6:7]
	v_fma_f64 v[72:73], v[72:73], -0.5, v[142:143]
	v_add_f64 v[4:5], v[4:5], -v[48:49]
	v_add_f64 v[146:147], v[56:57], v[48:49]
	v_fma_f64 v[68:69], v[74:75], s[16:17], v[68:69]
	v_fma_f64 v[74:75], v[74:75], s[16:17], v[50:51]
	;; [unrolled: 1-line block ×3, first 2 shown]
	v_add_f64 v[50:51], v[138:139], v[140:141]
	v_fma_f64 v[56:57], v[70:71], s[2:3], v[64:65]
	v_add_f64 v[64:65], v[144:145], v[40:41]
	v_fma_f64 v[70:71], v[4:5], s[4:5], v[72:73]
	v_add_f64 v[8:9], v[8:9], -v[10:11]
	v_add_f64 v[10:11], v[6:7], -v[40:41]
	;; [unrolled: 1-line block ×3, first 2 shown]
	v_fma_f64 v[72:73], v[4:5], s[2:3], v[72:73]
	v_add_f64 v[138:139], v[6:7], v[46:47]
	v_fma_f64 v[56:57], v[62:63], s[12:13], v[56:57]
	v_add_f64 v[62:63], v[64:65], v[52:53]
	;; [unrolled: 2-line block ×4, first 2 shown]
	v_fma_f64 v[72:73], v[8:9], s[14:15], v[72:73]
	v_fma_f64 v[136:137], v[138:139], -0.5, v[142:143]
	v_fma_f64 v[138:139], v[50:51], s[16:17], v[56:57]
	v_add_f64 v[50:51], v[0:1], v[12:13]
	v_add_f64 v[56:57], v[14:15], -v[66:67]
	v_fma_f64 v[48:49], v[48:49], -0.5, v[0:1]
	v_add_f64 v[6:7], v[40:41], -v[6:7]
	v_fma_f64 v[70:71], v[10:11], s[16:17], v[70:71]
	v_fma_f64 v[10:11], v[10:11], s[16:17], v[72:73]
	;; [unrolled: 1-line block ×3, first 2 shown]
	v_add_f64 v[40:41], v[52:53], -v[46:47]
	v_add_f64 v[62:63], v[62:63], v[46:47]
	v_fma_f64 v[8:9], v[8:9], s[4:5], v[136:137]
	v_add_f64 v[46:47], v[50:51], v[44:45]
	v_fma_f64 v[50:51], v[56:57], s[2:3], v[48:49]
	v_add_f64 v[52:53], v[42:43], -v[58:59]
	v_add_f64 v[136:137], v[12:13], v[60:61]
	v_add_f64 v[140:141], v[12:13], -v[44:45]
	v_add_f64 v[142:143], v[60:61], -v[54:55]
	v_add_f64 v[144:145], v[42:43], v[58:59]
	v_fma_f64 v[72:73], v[4:5], s[12:13], v[72:73]
	v_add_f64 v[6:7], v[6:7], v[40:41]
	v_fma_f64 v[4:5], v[4:5], s[14:15], v[8:9]
	v_add_f64 v[8:9], v[46:47], v[54:55]
	v_fma_f64 v[0:1], v[136:137], -0.5, v[0:1]
	v_fma_f64 v[40:41], v[52:53], s[14:15], v[50:51]
	v_add_f64 v[46:47], v[140:141], v[142:143]
	v_fma_f64 v[50:51], v[144:145], -0.5, v[2:3]
	v_add_f64 v[136:137], v[12:13], -v[60:61]
	v_fma_f64 v[140:141], v[6:7], s[16:17], v[72:73]
	v_add_f64 v[72:73], v[14:15], v[66:67]
	v_fma_f64 v[4:5], v[6:7], s[16:17], v[4:5]
	v_add_f64 v[6:7], v[8:9], v[60:61]
	v_add_f64 v[144:145], v[44:45], -v[54:55]
	v_fma_f64 v[8:9], v[46:47], s[16:17], v[40:41]
	v_add_f64 v[12:13], v[44:45], -v[12:13]
	v_fma_f64 v[40:41], v[136:137], s[4:5], v[50:51]
	v_add_f64 v[44:45], v[14:15], -v[42:43]
	v_fma_f64 v[72:73], v[72:73], -0.5, v[2:3]
	v_add_f64 v[148:149], v[66:67], -v[58:59]
	v_fma_f64 v[48:49], v[56:57], s[4:5], v[48:49]
	v_add_f64 v[2:3], v[2:3], v[14:15]
	v_add_f64 v[14:15], v[42:43], -v[14:15]
	v_add_f64 v[152:153], v[58:59], -v[66:67]
	v_fma_f64 v[40:41], v[144:145], s[12:13], v[40:41]
	v_fma_f64 v[50:51], v[136:137], s[2:3], v[50:51]
	;; [unrolled: 1-line block ×4, first 2 shown]
	v_add_f64 v[44:45], v[44:45], v[148:149]
	v_fma_f64 v[142:143], v[52:53], s[4:5], v[0:1]
	v_fma_f64 v[48:49], v[52:53], s[12:13], v[48:49]
	v_add_f64 v[54:55], v[54:55], -v[60:61]
	v_fma_f64 v[0:1], v[52:53], s[2:3], v[0:1]
	v_add_f64 v[2:3], v[2:3], v[42:43]
	v_fma_f64 v[42:43], v[136:137], s[12:13], v[150:151]
	v_add_f64 v[14:15], v[14:15], v[152:153]
	v_fma_f64 v[52:53], v[136:137], s[14:15], v[72:73]
	v_fma_f64 v[50:51], v[144:145], s[14:15], v[50:51]
	v_fma_f64 v[60:61], v[44:45], s[16:17], v[40:41]
	v_fma_f64 v[142:143], v[56:57], s[14:15], v[142:143]
	v_add_f64 v[12:13], v[12:13], v[54:55]
	v_fma_f64 v[0:1], v[56:57], s[12:13], v[0:1]
	v_add_f64 v[2:3], v[2:3], v[58:59]
	v_fma_f64 v[46:47], v[46:47], s[16:17], v[48:49]
	v_fma_f64 v[42:43], v[14:15], s[16:17], v[42:43]
	;; [unrolled: 1-line block ×4, first 2 shown]
	v_mul_f64 v[48:49], v[60:61], s[14:15]
	v_fma_f64 v[50:51], v[12:13], s[16:17], v[142:143]
	v_fma_f64 v[0:1], v[12:13], s[16:17], v[0:1]
	v_add_f64 v[2:3], v[2:3], v[66:67]
	v_add_f64 v[40:41], v[146:147], v[6:7]
	v_mul_f64 v[12:13], v[42:43], s[2:3]
	v_mul_f64 v[52:53], v[14:15], s[2:3]
	;; [unrolled: 1-line block ×3, first 2 shown]
	v_fma_f64 v[66:67], v[8:9], s[20:21], v[48:49]
	v_mul_f64 v[48:49], v[60:61], s[20:21]
	v_mul_f64 v[42:43], v[42:43], s[16:17]
	;; [unrolled: 1-line block ×4, first 2 shown]
	v_fma_f64 v[12:13], v[50:51], s[16:17], v[12:13]
	v_fma_f64 v[142:143], v[0:1], s[18:19], v[52:53]
	;; [unrolled: 1-line block ×3, first 2 shown]
	v_add_f64 v[44:45], v[68:69], v[66:67]
	v_fma_f64 v[8:9], v[8:9], s[12:13], v[48:49]
	v_fma_f64 v[148:149], v[50:51], s[4:5], v[42:43]
	;; [unrolled: 1-line block ×4, first 2 shown]
	v_add_f64 v[48:49], v[64:65], v[12:13]
	v_add_f64 v[52:53], v[138:139], v[142:143]
	;; [unrolled: 1-line block ×8, first 2 shown]
	v_add_f64 v[60:61], v[146:147], -v[6:7]
	v_add_f64 v[72:73], v[68:69], -v[66:67]
	;; [unrolled: 1-line block ×10, first 2 shown]
	s_barrier
	ds_write_b128 v180, v[40:43]
	ds_write_b128 v180, v[44:47] offset:160
	ds_write_b128 v180, v[48:51] offset:320
	;; [unrolled: 1-line block ×9, first 2 shown]
	s_waitcnt lgkmcnt(0)
	s_barrier
	s_and_saveexec_b64 s[2:3], s[0:1]
	s_cbranch_execz .LBB0_7
; %bb.6:
	ds_read_b128 v[40:43], v255
	ds_read_b128 v[44:47], v255 offset:1600
	ds_read_b128 v[48:51], v255 offset:3200
	;; [unrolled: 1-line block ×12, first 2 shown]
.LBB0_7:
	s_or_b64 exec, exec, s[2:3]
	s_and_saveexec_b64 s[2:3], s[0:1]
	s_cbranch_execz .LBB0_9
; %bb.8:
	s_waitcnt lgkmcnt(6)
	v_mul_f64 v[0:1], v[114:115], v[74:75]
	s_waitcnt lgkmcnt(5)
	v_mul_f64 v[2:3], v[110:111], v[138:139]
	v_mul_f64 v[4:5], v[114:115], v[72:73]
	;; [unrolled: 1-line block ×4, first 2 shown]
	s_waitcnt lgkmcnt(4)
	v_mul_f64 v[10:11], v[94:95], v[70:71]
	s_waitcnt lgkmcnt(3)
	v_mul_f64 v[12:13], v[122:123], v[64:65]
	s_mov_b32 s14, 0x4bc48dbf
	v_fma_f64 v[114:115], v[112:113], v[72:73], v[0:1]
	v_mul_f64 v[0:1], v[86:87], v[58:59]
	v_fma_f64 v[110:111], v[108:109], v[136:137], v[2:3]
	v_fma_f64 v[136:137], v[116:117], v[60:61], v[8:9]
	v_mul_f64 v[2:3], v[118:119], v[60:61]
	v_mul_f64 v[8:9], v[94:95], v[68:69]
	v_fma_f64 v[72:73], v[92:93], v[68:69], v[10:11]
	s_waitcnt lgkmcnt(2)
	v_mul_f64 v[10:11], v[98:99], v[134:135]
	v_fma_f64 v[112:113], v[112:113], v[74:75], -v[4:5]
	v_fma_f64 v[94:95], v[84:85], v[56:57], v[0:1]
	v_mul_f64 v[0:1], v[82:83], v[54:55]
	v_mul_f64 v[4:5], v[122:123], v[66:67]
	v_fma_f64 v[116:117], v[116:117], v[62:63], -v[2:3]
	v_mul_f64 v[2:3], v[86:87], v[56:57]
	v_fma_f64 v[62:63], v[92:93], v[70:71], -v[8:9]
	s_waitcnt lgkmcnt(0)
	v_mul_f64 v[8:9], v[106:107], v[126:127]
	v_fma_f64 v[56:57], v[96:97], v[132:133], v[10:11]
	v_mul_f64 v[10:11], v[102:103], v[130:131]
	v_fma_f64 v[70:71], v[80:81], v[52:53], v[0:1]
	;; [unrolled: 2-line block ×3, first 2 shown]
	v_fma_f64 v[84:85], v[84:85], v[58:59], -v[2:3]
	v_mul_f64 v[2:3], v[35:36], v[50:51]
	v_fma_f64 v[58:59], v[104:105], v[124:125], v[8:9]
	v_mul_f64 v[8:9], v[106:107], v[124:125]
	v_fma_f64 v[64:65], v[120:121], v[66:67], -v[12:13]
	v_mul_f64 v[12:13], v[82:83], v[52:53]
	v_fma_f64 v[122:123], v[88:89], v[44:45], v[0:1]
	v_mul_f64 v[0:1], v[90:91], v[44:45]
	v_fma_f64 v[82:83], v[100:101], v[128:129], v[10:11]
	v_fma_f64 v[106:107], v[33:34], v[48:49], v[2:3]
	v_mul_f64 v[2:3], v[35:36], v[48:49]
	v_mul_f64 v[10:11], v[102:103], v[128:129]
	v_fma_f64 v[66:67], v[104:105], v[126:127], -v[8:9]
	s_mov_b32 s15, 0xbfcea1e5
	v_add_f64 v[150:151], v[122:123], -v[58:59]
	v_fma_f64 v[124:125], v[88:89], v[46:47], -v[0:1]
	v_mul_f64 v[0:1], v[98:99], v[132:133]
	v_add_f64 v[148:149], v[106:107], -v[82:83]
	v_fma_f64 v[98:99], v[33:34], v[50:51], -v[2:3]
	v_fma_f64 v[76:77], v[100:101], v[130:131], -v[10:11]
	s_mov_b32 s12, 0x93053d00
	s_mov_b32 s17, 0x3fddbe06
	v_mul_f64 v[2:3], v[150:151], s[14:15]
	v_add_f64 v[92:93], v[124:125], v[66:67]
	s_mov_b32 s16, 0x4267c47c
	s_mov_b32 s13, 0xbfef11f4
	v_add_f64 v[120:121], v[70:71], -v[56:57]
	v_fma_f64 v[102:103], v[80:81], v[54:55], -v[12:13]
	v_fma_f64 v[78:79], v[96:97], v[134:135], -v[0:1]
	v_mul_f64 v[0:1], v[148:149], s[16:17]
	v_add_f64 v[88:89], v[98:99], v[76:77]
	v_fma_f64 v[8:9], v[92:93], s[12:13], v[2:3]
	s_mov_b32 s22, 0x24c2f84
	s_mov_b32 s18, 0xe00740e9
	;; [unrolled: 1-line block ×4, first 2 shown]
	v_add_f64 v[86:87], v[94:95], -v[68:69]
	v_mul_f64 v[10:11], v[120:121], s[22:23]
	v_add_f64 v[90:91], v[102:103], v[78:79]
	v_fma_f64 v[12:13], v[88:89], s[18:19], v[0:1]
	v_add_f64 v[8:9], v[42:43], v[8:9]
	v_add_f64 v[130:131], v[124:125], -v[66:67]
	s_mov_b32 s36, 0x42a4c3d2
	s_mov_b32 s20, 0xd0032e0c
	;; [unrolled: 1-line block ×4, first 2 shown]
	v_mul_f64 v[14:15], v[86:87], s[36:37]
	v_add_f64 v[80:81], v[84:85], v[64:65]
	v_fma_f64 v[44:45], v[90:91], s[20:21], v[10:11]
	v_add_f64 v[8:9], v[12:13], v[8:9]
	v_add_f64 v[128:129], v[98:99], -v[76:77]
	v_add_f64 v[126:127], v[122:123], v[58:59]
	v_mul_f64 v[12:13], v[130:131], s[14:15]
	s_mov_b32 s28, 0x1ea71119
	s_mov_b32 s29, 0x3fe22d96
	v_fma_f64 v[46:47], v[80:81], s[28:29], v[14:15]
	v_add_f64 v[132:133], v[102:103], -v[78:79]
	v_add_f64 v[8:9], v[44:45], v[8:9]
	v_add_f64 v[104:105], v[106:107], v[82:83]
	v_mul_f64 v[44:45], v[128:129], s[16:17]
	v_fma_f64 v[48:49], v[126:127], s[12:13], -v[12:13]
	v_add_f64 v[118:119], v[136:137], -v[72:73]
	v_add_f64 v[140:141], v[84:85], -v[64:65]
	v_add_f64 v[100:101], v[70:71], v[56:57]
	v_fma_f64 v[2:3], v[92:93], s[12:13], -v[2:3]
	v_add_f64 v[8:9], v[46:47], v[8:9]
	v_mul_f64 v[46:47], v[132:133], s[22:23]
	v_fma_f64 v[52:53], v[104:105], s[18:19], -v[44:45]
	v_add_f64 v[48:49], v[40:41], v[48:49]
	s_mov_b32 s4, 0x2ef20147
	s_mov_b32 s5, 0xbfedeba7
	v_fma_f64 v[74:75], v[108:109], v[138:139], -v[6:7]
	v_add_f64 v[108:109], v[114:115], -v[110:111]
	v_mul_f64 v[4:5], v[118:119], s[4:5]
	v_add_f64 v[96:97], v[116:117], v[62:63]
	v_add_f64 v[146:147], v[116:117], -v[62:63]
	v_add_f64 v[134:135], v[94:95], v[68:69]
	v_mul_f64 v[54:55], v[140:141], s[36:37]
	v_fma_f64 v[138:139], v[100:101], s[20:21], -v[46:47]
	v_fma_f64 v[12:13], v[126:127], s[12:13], v[12:13]
	v_add_f64 v[48:49], v[52:53], v[48:49]
	v_fma_f64 v[0:1], v[88:89], s[18:19], -v[0:1]
	v_add_f64 v[2:3], v[42:43], v[2:3]
	s_mov_b32 s26, 0x66966769
	s_mov_b32 s24, 0xb2365da1
	;; [unrolled: 1-line block ×4, first 2 shown]
	v_add_f64 v[60:61], v[112:113], v[74:75]
	v_mul_f64 v[6:7], v[108:109], s[26:27]
	v_fma_f64 v[50:51], v[96:97], s[24:25], v[4:5]
	v_add_f64 v[144:145], v[112:113], -v[74:75]
	v_add_f64 v[142:143], v[136:137], v[72:73]
	v_mul_f64 v[52:53], v[146:147], s[4:5]
	v_fma_f64 v[152:153], v[134:135], s[28:29], -v[54:55]
	v_fma_f64 v[44:45], v[104:105], s[18:19], v[44:45]
	v_add_f64 v[12:13], v[40:41], v[12:13]
	v_add_f64 v[48:49], v[138:139], v[48:49]
	v_fma_f64 v[10:11], v[90:91], s[20:21], -v[10:11]
	v_add_f64 v[0:1], v[0:1], v[2:3]
	s_mov_b32 s0, 0xebaa3ed8
	s_mov_b32 s1, 0x3fbedb7d
	v_add_f64 v[138:139], v[114:115], v[110:111]
	v_mul_f64 v[2:3], v[144:145], s[26:27]
	v_fma_f64 v[154:155], v[142:143], s[24:25], -v[52:53]
	v_fma_f64 v[46:47], v[100:101], s[20:21], v[46:47]
	v_add_f64 v[12:13], v[44:45], v[12:13]
	v_add_f64 v[44:45], v[152:153], v[48:49]
	v_fma_f64 v[14:15], v[80:81], s[28:29], -v[14:15]
	v_add_f64 v[0:1], v[10:11], v[0:1]
	v_fma_f64 v[10:11], v[60:61], s[0:1], v[6:7]
	v_add_f64 v[8:9], v[50:51], v[8:9]
	v_fma_f64 v[48:49], v[138:139], s[0:1], -v[2:3]
	v_fma_f64 v[50:51], v[134:135], s[28:29], v[54:55]
	v_add_f64 v[12:13], v[46:47], v[12:13]
	v_add_f64 v[44:45], v[154:155], v[44:45]
	v_fma_f64 v[4:5], v[96:97], s[24:25], -v[4:5]
	v_add_f64 v[0:1], v[14:15], v[0:1]
	v_mul_f64 v[14:15], v[148:149], s[26:27]
	v_add_f64 v[46:47], v[10:11], v[8:9]
	v_mul_f64 v[10:11], v[150:151], s[22:23]
	v_fma_f64 v[8:9], v[142:143], s[24:25], v[52:53]
	v_add_f64 v[12:13], v[50:51], v[12:13]
	v_add_f64 v[44:45], v[48:49], v[44:45]
	s_mov_b32 s31, 0xbfea55e2
	v_add_f64 v[0:1], v[4:5], v[0:1]
	v_mul_f64 v[4:5], v[130:131], s[22:23]
	s_mov_b32 s30, s36
	v_fma_f64 v[48:49], v[92:93], s[20:21], v[10:11]
	v_mul_f64 v[52:53], v[120:121], s[30:31]
	v_add_f64 v[8:9], v[8:9], v[12:13]
	v_mul_f64 v[12:13], v[128:129], s[26:27]
	v_fma_f64 v[54:55], v[88:89], s[0:1], v[14:15]
	s_mov_b32 s41, 0x3fcea1e5
	v_fma_f64 v[50:51], v[126:127], s[20:21], -v[4:5]
	s_mov_b32 s40, s14
	v_add_f64 v[48:49], v[42:43], v[48:49]
	v_mul_f64 v[152:153], v[132:133], s[30:31]
	v_mul_f64 v[156:157], v[86:87], s[40:41]
	v_fma_f64 v[154:155], v[104:105], s[0:1], -v[12:13]
	v_fma_f64 v[158:159], v[90:91], s[28:29], v[52:53]
	v_mul_f64 v[160:161], v[118:119], s[16:17]
	v_add_f64 v[50:51], v[40:41], v[50:51]
	v_mul_f64 v[164:165], v[140:141], s[40:41]
	v_add_f64 v[48:49], v[54:55], v[48:49]
	v_fma_f64 v[54:55], v[100:101], s[28:29], -v[152:153]
	v_fma_f64 v[10:11], v[92:93], s[20:21], -v[10:11]
	v_fma_f64 v[4:5], v[126:127], s[20:21], v[4:5]
	v_mul_f64 v[162:163], v[108:109], s[4:5]
	v_mul_f64 v[166:167], v[146:147], s[16:17]
	v_add_f64 v[50:51], v[154:155], v[50:51]
	v_fma_f64 v[154:155], v[80:81], s[12:13], v[156:157]
	v_add_f64 v[48:49], v[158:159], v[48:49]
	v_fma_f64 v[158:159], v[96:97], s[18:19], v[160:161]
	v_fma_f64 v[168:169], v[134:135], s[12:13], -v[164:165]
	v_fma_f64 v[14:15], v[88:89], s[0:1], -v[14:15]
	v_add_f64 v[10:11], v[42:43], v[10:11]
	v_fma_f64 v[12:13], v[104:105], s[0:1], v[12:13]
	v_add_f64 v[50:51], v[54:55], v[50:51]
	v_add_f64 v[4:5], v[40:41], v[4:5]
	;; [unrolled: 1-line block ×3, first 2 shown]
	v_fma_f64 v[6:7], v[60:61], s[0:1], -v[6:7]
	v_fma_f64 v[2:3], v[138:139], s[0:1], v[2:3]
	v_mul_f64 v[154:155], v[144:145], s[4:5]
	v_fma_f64 v[54:55], v[142:143], s[18:19], -v[166:167]
	v_fma_f64 v[52:53], v[90:91], s[28:29], -v[52:53]
	v_add_f64 v[50:51], v[168:169], v[50:51]
	v_add_f64 v[10:11], v[14:15], v[10:11]
	v_fma_f64 v[14:15], v[60:61], s[24:25], v[162:163]
	v_fma_f64 v[152:153], v[100:101], s[28:29], v[152:153]
	v_add_f64 v[4:5], v[12:13], v[4:5]
	v_add_f64 v[12:13], v[158:159], v[48:49]
	v_fma_f64 v[48:49], v[138:139], s[24:25], -v[154:155]
	v_fma_f64 v[156:157], v[80:81], s[12:13], -v[156:157]
	v_add_f64 v[158:159], v[54:55], v[50:51]
	v_add_f64 v[10:11], v[52:53], v[10:11]
	;; [unrolled: 1-line block ×3, first 2 shown]
	v_fma_f64 v[0:1], v[134:135], s[12:13], v[164:165]
	v_add_f64 v[4:5], v[152:153], v[4:5]
	v_add_f64 v[52:53], v[2:3], v[8:9]
	;; [unrolled: 1-line block ×3, first 2 shown]
	v_mul_f64 v[8:9], v[150:151], s[4:5]
	v_mul_f64 v[14:15], v[130:131], s[4:5]
	s_mov_b32 s39, 0x3fe5384d
	s_mov_b32 s38, s22
	v_add_f64 v[48:49], v[48:49], v[158:159]
	v_fma_f64 v[2:3], v[96:97], s[18:19], -v[160:161]
	v_add_f64 v[6:7], v[156:157], v[10:11]
	v_fma_f64 v[10:11], v[142:143], s[18:19], v[166:167]
	v_add_f64 v[0:1], v[0:1], v[4:5]
	v_mul_f64 v[4:5], v[148:149], s[38:39]
	v_fma_f64 v[152:153], v[92:93], s[24:25], v[8:9]
	v_mul_f64 v[156:157], v[128:129], s[38:39]
	v_fma_f64 v[158:159], v[126:127], s[24:25], -v[14:15]
	v_mul_f64 v[164:165], v[132:133], s[16:17]
	v_add_f64 v[2:3], v[2:3], v[6:7]
	v_fma_f64 v[6:7], v[138:139], s[24:25], v[154:155]
	v_add_f64 v[0:1], v[10:11], v[0:1]
	v_mul_f64 v[10:11], v[120:121], s[16:17]
	v_fma_f64 v[154:155], v[88:89], s[20:21], v[4:5]
	v_add_f64 v[152:153], v[42:43], v[152:153]
	v_fma_f64 v[166:167], v[104:105], s[20:21], -v[156:157]
	v_add_f64 v[158:159], v[40:41], v[158:159]
	v_fma_f64 v[8:9], v[92:93], s[24:25], -v[8:9]
	s_mov_b32 s35, 0xbfefc445
	s_mov_b32 s34, s26
	v_fma_f64 v[12:13], v[60:61], s[24:25], -v[162:163]
	v_mul_f64 v[160:161], v[86:87], s[34:35]
	v_fma_f64 v[162:163], v[90:91], s[18:19], v[10:11]
	v_add_f64 v[152:153], v[154:155], v[152:153]
	v_mul_f64 v[172:173], v[140:141], s[34:35]
	v_fma_f64 v[174:175], v[100:101], s[18:19], -v[164:165]
	v_add_f64 v[158:159], v[166:167], v[158:159]
	v_fma_f64 v[4:5], v[88:89], s[20:21], -v[4:5]
	v_add_f64 v[8:9], v[42:43], v[8:9]
	v_mul_f64 v[170:171], v[118:119], s[40:41]
	v_fma_f64 v[154:155], v[80:81], s[0:1], v[160:161]
	v_add_f64 v[152:153], v[162:163], v[152:153]
	v_mul_f64 v[166:167], v[146:147], s[40:41]
	v_fma_f64 v[176:177], v[134:135], s[0:1], -v[172:173]
	v_fma_f64 v[14:15], v[126:127], s[24:25], v[14:15]
	v_add_f64 v[158:159], v[174:175], v[158:159]
	v_fma_f64 v[10:11], v[90:91], s[18:19], -v[10:11]
	v_add_f64 v[4:5], v[4:5], v[8:9]
	v_mul_f64 v[168:169], v[108:109], s[36:37]
	v_fma_f64 v[162:163], v[96:97], s[12:13], v[170:171]
	v_add_f64 v[152:153], v[154:155], v[152:153]
	v_fma_f64 v[154:155], v[142:143], s[12:13], -v[166:167]
	v_fma_f64 v[156:157], v[104:105], s[20:21], v[156:157]
	v_add_f64 v[14:15], v[40:41], v[14:15]
	v_add_f64 v[158:159], v[176:177], v[158:159]
	v_fma_f64 v[160:161], v[80:81], s[0:1], -v[160:161]
	v_add_f64 v[4:5], v[10:11], v[4:5]
	v_mul_f64 v[8:9], v[144:145], s[36:37]
	v_fma_f64 v[174:175], v[60:61], s[28:29], v[168:169]
	v_add_f64 v[10:11], v[162:163], v[152:153]
	v_fma_f64 v[164:165], v[100:101], s[18:19], v[164:165]
	v_add_f64 v[14:15], v[156:157], v[14:15]
	v_add_f64 v[156:157], v[154:155], v[158:159]
	v_add_f64 v[154:155], v[12:13], v[2:3]
	v_fma_f64 v[2:3], v[96:97], s[12:13], -v[170:171]
	v_add_f64 v[4:5], v[160:161], v[4:5]
	v_fma_f64 v[162:163], v[138:139], s[28:29], -v[8:9]
	v_add_f64 v[152:153], v[6:7], v[0:1]
	v_add_f64 v[158:159], v[174:175], v[10:11]
	v_fma_f64 v[0:1], v[134:135], s[0:1], v[172:173]
	v_add_f64 v[6:7], v[164:165], v[14:15]
	v_mul_f64 v[10:11], v[150:151], s[34:35]
	v_fma_f64 v[12:13], v[60:61], s[28:29], -v[168:169]
	v_add_f64 v[2:3], v[2:3], v[4:5]
	v_mul_f64 v[4:5], v[130:131], s[34:35]
	v_add_f64 v[156:157], v[162:163], v[156:157]
	v_mul_f64 v[168:169], v[128:129], s[14:15]
	s_mov_b32 s37, 0x3fedeba7
	v_add_f64 v[0:1], v[0:1], v[6:7]
	v_mul_f64 v[6:7], v[148:149], s[14:15]
	v_fma_f64 v[160:161], v[92:93], s[0:1], v[10:11]
	s_mov_b32 s36, s4
	v_fma_f64 v[162:163], v[126:127], s[0:1], -v[4:5]
	v_fma_f64 v[14:15], v[142:143], s[12:13], v[166:167]
	v_mul_f64 v[164:165], v[120:121], s[36:37]
	v_fma_f64 v[10:11], v[92:93], s[0:1], -v[10:11]
	v_mul_f64 v[172:173], v[132:133], s[36:37]
	v_fma_f64 v[166:167], v[88:89], s[12:13], v[6:7]
	v_add_f64 v[160:161], v[42:43], v[160:161]
	v_fma_f64 v[170:171], v[104:105], s[12:13], -v[168:169]
	v_add_f64 v[162:163], v[40:41], v[162:163]
	v_mul_f64 v[174:175], v[86:87], s[16:17]
	v_fma_f64 v[6:7], v[88:89], s[12:13], -v[6:7]
	v_add_f64 v[10:11], v[42:43], v[10:11]
	v_fma_f64 v[176:177], v[90:91], s[24:25], v[164:165]
	v_mul_f64 v[178:179], v[140:141], s[16:17]
	v_add_f64 v[160:161], v[166:167], v[160:161]
	v_fma_f64 v[166:167], v[100:101], s[24:25], -v[172:173]
	v_add_f64 v[162:163], v[170:171], v[162:163]
	v_fma_f64 v[164:165], v[90:91], s[24:25], -v[164:165]
	v_mul_f64 v[170:171], v[118:119], s[30:31]
	v_add_f64 v[6:7], v[6:7], v[10:11]
	v_fma_f64 v[10:11], v[80:81], s[18:19], v[174:175]
	v_fma_f64 v[180:181], v[134:135], s[18:19], -v[178:179]
	v_add_f64 v[160:161], v[176:177], v[160:161]
	v_mul_f64 v[176:177], v[146:147], s[30:31]
	v_add_f64 v[162:163], v[166:167], v[162:163]
	v_fma_f64 v[174:175], v[80:81], s[18:19], -v[174:175]
	v_mul_f64 v[182:183], v[144:145], s[22:23]
	v_add_f64 v[6:7], v[164:165], v[6:7]
	v_fma_f64 v[8:9], v[138:139], s[28:29], v[8:9]
	v_mul_f64 v[166:167], v[108:109], s[22:23]
	v_add_f64 v[10:11], v[10:11], v[160:161]
	v_fma_f64 v[160:161], v[142:143], s[28:29], -v[176:177]
	v_add_f64 v[180:181], v[180:181], v[162:163]
	v_fma_f64 v[164:165], v[96:97], s[28:29], v[170:171]
	v_add_f64 v[0:1], v[14:15], v[0:1]
	v_fma_f64 v[14:15], v[96:97], s[28:29], -v[170:171]
	v_add_f64 v[6:7], v[174:175], v[6:7]
	v_add_f64 v[162:163], v[12:13], v[2:3]
	v_fma_f64 v[2:3], v[138:139], s[20:21], -v[182:183]
	v_fma_f64 v[170:171], v[60:61], s[20:21], v[166:167]
	v_add_f64 v[12:13], v[160:161], v[180:181]
	v_mul_f64 v[180:181], v[150:151], s[30:31]
	v_add_f64 v[10:11], v[164:165], v[10:11]
	v_fma_f64 v[174:175], v[60:61], s[20:21], -v[166:167]
	v_add_f64 v[6:7], v[14:15], v[6:7]
	v_add_f64 v[160:161], v[8:9], v[0:1]
	v_mul_f64 v[0:1], v[130:131], s[30:31]
	v_fma_f64 v[4:5], v[126:127], s[0:1], v[4:5]
	v_add_f64 v[164:165], v[2:3], v[12:13]
	v_mul_f64 v[2:3], v[148:149], s[4:5]
	v_fma_f64 v[8:9], v[92:93], s[28:29], v[180:181]
	v_add_f64 v[166:167], v[170:171], v[10:11]
	v_add_f64 v[170:171], v[174:175], v[6:7]
	v_fma_f64 v[6:7], v[104:105], s[12:13], v[168:169]
	v_mul_f64 v[10:11], v[128:129], s[4:5]
	v_fma_f64 v[12:13], v[126:127], s[28:29], -v[0:1]
	v_add_f64 v[4:5], v[40:41], v[4:5]
	v_mul_f64 v[14:15], v[120:121], s[14:15]
	v_fma_f64 v[168:169], v[88:89], s[24:25], v[2:3]
	v_add_f64 v[8:9], v[42:43], v[8:9]
	v_fma_f64 v[172:173], v[100:101], s[24:25], v[172:173]
	v_fma_f64 v[180:181], v[92:93], s[28:29], -v[180:181]
	v_fma_f64 v[184:185], v[104:105], s[24:25], -v[10:11]
	v_add_f64 v[12:13], v[40:41], v[12:13]
	v_add_f64 v[4:5], v[6:7], v[4:5]
	v_mul_f64 v[6:7], v[86:87], s[38:39]
	v_fma_f64 v[186:187], v[90:91], s[12:13], v[14:15]
	v_add_f64 v[8:9], v[168:169], v[8:9]
	v_fma_f64 v[168:169], v[134:135], s[18:19], v[178:179]
	v_fma_f64 v[2:3], v[88:89], s[24:25], -v[2:3]
	v_add_f64 v[180:181], v[42:43], v[180:181]
	v_add_f64 v[12:13], v[184:185], v[12:13]
	;; [unrolled: 1-line block ×3, first 2 shown]
	v_fma_f64 v[184:185], v[80:81], s[20:21], v[6:7]
	v_fma_f64 v[0:1], v[126:127], s[28:29], v[0:1]
	v_add_f64 v[8:9], v[186:187], v[8:9]
	v_add_f64 v[124:125], v[42:43], v[124:125]
	;; [unrolled: 1-line block ×3, first 2 shown]
	v_mul_f64 v[174:175], v[132:133], s[14:15]
	v_fma_f64 v[14:15], v[90:91], s[12:13], -v[14:15]
	v_add_f64 v[4:5], v[168:169], v[4:5]
	v_mul_f64 v[168:169], v[108:109], s[16:17]
	v_add_f64 v[2:3], v[2:3], v[180:181]
	v_add_f64 v[8:9], v[184:185], v[8:9]
	v_mul_f64 v[184:185], v[144:145], s[16:17]
	s_mov_b32 s17, 0xbfddbe06
	v_mul_f64 v[150:151], v[150:151], s[16:17]
	v_fma_f64 v[10:11], v[104:105], s[24:25], v[10:11]
	v_add_f64 v[0:1], v[40:41], v[0:1]
	v_mul_f64 v[148:149], v[148:149], s[30:31]
	v_add_f64 v[98:99], v[124:125], v[98:99]
	v_add_f64 v[106:107], v[122:123], v[106:107]
	v_fma_f64 v[188:189], v[100:101], s[12:13], -v[174:175]
	v_add_f64 v[2:3], v[14:15], v[2:3]
	v_fma_f64 v[180:181], v[92:93], s[18:19], v[150:151]
	v_fma_f64 v[14:15], v[100:101], s[12:13], v[174:175]
	v_add_f64 v[0:1], v[10:11], v[0:1]
	v_mul_f64 v[10:11], v[120:121], s[34:35]
	v_fma_f64 v[120:121], v[88:89], s[28:29], v[148:149]
	v_add_f64 v[98:99], v[98:99], v[102:103]
	v_add_f64 v[70:71], v[106:107], v[70:71]
	v_mul_f64 v[178:179], v[140:141], s[38:39]
	v_add_f64 v[174:175], v[42:43], v[180:181]
	v_fma_f64 v[6:7], v[80:81], s[20:21], -v[6:7]
	v_add_f64 v[0:1], v[14:15], v[0:1]
	v_mul_f64 v[14:15], v[86:87], s[4:5]
	v_fma_f64 v[86:87], v[90:91], s[0:1], v[10:11]
	v_add_f64 v[84:85], v[98:99], v[84:85]
	v_add_f64 v[94:95], v[70:71], v[94:95]
	v_fma_f64 v[92:93], v[92:93], s[18:19], -v[150:151]
	v_add_f64 v[120:121], v[120:121], v[174:175]
	v_add_f64 v[2:3], v[6:7], v[2:3]
	v_fma_f64 v[6:7], v[134:135], s[20:21], v[178:179]
	v_fma_f64 v[106:107], v[80:81], s[24:25], v[14:15]
	v_fma_f64 v[88:89], v[88:89], s[28:29], -v[148:149]
	v_add_f64 v[84:85], v[84:85], v[116:117]
	v_add_f64 v[94:95], v[94:95], v[136:137]
	;; [unrolled: 1-line block ×4, first 2 shown]
	v_mul_f64 v[120:121], v[128:129], s[30:31]
	v_mul_f64 v[172:173], v[118:119], s[26:27]
	v_mul_f64 v[186:187], v[146:147], s[26:27]
	v_add_f64 v[0:1], v[6:7], v[0:1]
	v_add_f64 v[84:85], v[84:85], v[112:113]
	;; [unrolled: 1-line block ×3, first 2 shown]
	v_mul_f64 v[114:115], v[132:133], s[34:35]
	v_add_f64 v[86:87], v[106:107], v[86:87]
	v_mul_f64 v[106:107], v[130:131], s[16:17]
	v_fma_f64 v[92:93], v[104:105], s[28:29], v[120:121]
	v_fma_f64 v[104:105], v[104:105], s[28:29], -v[120:121]
	v_mul_f64 v[6:7], v[118:119], s[22:23]
	v_add_f64 v[74:75], v[84:85], v[74:75]
	v_add_f64 v[84:85], v[94:95], v[110:111]
	v_mul_f64 v[118:119], v[140:141], s[4:5]
	v_fma_f64 v[10:11], v[90:91], s[0:1], -v[10:11]
	v_fma_f64 v[112:113], v[126:127], s[18:19], v[106:107]
	v_fma_f64 v[106:107], v[126:127], s[18:19], -v[106:107]
	v_add_f64 v[42:43], v[88:89], v[42:43]
	v_fma_f64 v[88:89], v[100:101], s[0:1], v[114:115]
	v_add_f64 v[62:63], v[74:75], v[62:63]
	v_add_f64 v[72:73], v[84:85], v[72:73]
	v_fma_f64 v[84:85], v[100:101], s[0:1], -v[114:115]
	v_fma_f64 v[102:103], v[142:143], s[0:1], v[186:187]
	v_add_f64 v[94:95], v[40:41], v[112:113]
	v_add_f64 v[40:41], v[40:41], v[106:107]
	v_mul_f64 v[116:117], v[146:147], s[22:23]
	v_fma_f64 v[14:15], v[80:81], s[24:25], -v[14:15]
	v_add_f64 v[62:63], v[62:63], v[64:65]
	v_add_f64 v[64:65], v[72:73], v[68:69]
	;; [unrolled: 1-line block ×3, first 2 shown]
	v_fma_f64 v[42:43], v[134:135], s[24:25], v[118:119]
	v_add_f64 v[74:75], v[92:93], v[94:95]
	v_add_f64 v[40:41], v[104:105], v[40:41]
	v_fma_f64 v[176:177], v[142:143], s[28:29], v[176:177]
	v_add_f64 v[12:13], v[188:189], v[12:13]
	v_fma_f64 v[188:189], v[96:97], s[0:1], v[172:173]
	v_fma_f64 v[172:173], v[96:97], s[0:1], -v[172:173]
	v_fma_f64 v[190:191], v[134:135], s[20:21], -v[178:179]
	;; [unrolled: 1-line block ×3, first 2 shown]
	v_add_f64 v[68:69], v[88:89], v[74:75]
	v_add_f64 v[40:41], v[84:85], v[40:41]
	;; [unrolled: 1-line block ×5, first 2 shown]
	v_mul_f64 v[98:99], v[108:109], s[14:15]
	v_fma_f64 v[102:103], v[96:97], s[20:21], v[6:7]
	v_mul_f64 v[108:109], v[144:145], s[14:15]
	v_fma_f64 v[6:7], v[96:97], s[20:21], -v[6:7]
	v_add_f64 v[10:11], v[14:15], v[10:11]
	v_fma_f64 v[14:15], v[142:143], s[20:21], v[116:117]
	v_add_f64 v[42:43], v[42:43], v[68:69]
	v_add_f64 v[4:5], v[176:177], v[4:5]
	v_fma_f64 v[176:177], v[60:61], s[18:19], v[168:169]
	v_fma_f64 v[168:169], v[60:61], s[18:19], -v[168:169]
	v_add_f64 v[2:3], v[172:173], v[2:3]
	v_fma_f64 v[192:193], v[142:143], s[0:1], -v[186:187]
	v_add_f64 v[12:13], v[190:191], v[12:13]
	;; [unrolled: 2-line block ×3, first 2 shown]
	v_add_f64 v[62:63], v[62:63], v[76:77]
	v_add_f64 v[56:57], v[56:57], v[82:83]
	v_fma_f64 v[68:69], v[60:61], s[12:13], -v[98:99]
	v_add_f64 v[6:7], v[6:7], v[10:11]
	v_fma_f64 v[10:11], v[138:139], s[12:13], v[108:109]
	v_add_f64 v[14:15], v[14:15], v[42:43]
	v_add_f64 v[70:71], v[168:169], v[2:3]
	v_fma_f64 v[2:3], v[138:139], s[18:19], v[184:185]
	v_fma_f64 v[182:183], v[138:139], s[20:21], v[182:183]
	v_add_f64 v[8:9], v[188:189], v[8:9]
	v_fma_f64 v[188:189], v[138:139], s[18:19], -v[184:185]
	v_add_f64 v[12:13], v[192:193], v[12:13]
	v_fma_f64 v[72:73], v[60:61], s[12:13], v[98:99]
	v_add_f64 v[74:75], v[102:103], v[86:87]
	v_fma_f64 v[76:77], v[138:139], s[12:13], -v[108:109]
	v_add_f64 v[78:79], v[64:65], v[40:41]
	v_add_f64 v[60:61], v[62:63], v[66:67]
	v_add_f64 v[58:59], v[56:57], v[58:59]
	v_add_f64 v[42:43], v[68:69], v[6:7]
	v_add_f64 v[40:41], v[10:11], v[14:15]
	v_add_f64 v[68:69], v[2:3], v[0:1]
	v_add_f64 v[168:169], v[182:183], v[4:5]
	v_add_f64 v[64:65], v[176:177], v[8:9]
	v_add_f64 v[62:63], v[188:189], v[12:13]
	v_add_f64 v[74:75], v[72:73], v[74:75]
	v_add_f64 v[72:73], v[76:77], v[78:79]
	ds_write_b128 v255, v[58:61]
	ds_write_b128 v255, v[40:43] offset:1600
	ds_write_b128 v255, v[68:71] offset:3200
	ds_write_b128 v255, v[168:171] offset:4800
	ds_write_b128 v255, v[160:163] offset:6400
	ds_write_b128 v255, v[152:155] offset:8000
	ds_write_b128 v255, v[52:55] offset:9600
	ds_write_b128 v255, v[44:47] offset:11200
	ds_write_b128 v255, v[48:51] offset:12800
	ds_write_b128 v255, v[156:159] offset:14400
	ds_write_b128 v255, v[164:167] offset:16000
	ds_write_b128 v255, v[62:65] offset:17600
	ds_write_b128 v255, v[72:75] offset:19200
.LBB0_9:
	s_or_b64 exec, exec, s[2:3]
	s_waitcnt lgkmcnt(0)
	s_barrier
	ds_read_b128 v[40:43], v255
	ds_read_b128 v[44:47], v255 offset:2080
	v_mad_u64_u32 v[0:1], s[0:1], s10, v233, 0
	ds_read_b128 v[12:15], v255 offset:4160
	s_waitcnt lgkmcnt(2)
	v_mul_f64 v[2:3], v[249:250], v[42:43]
	v_mul_f64 v[4:5], v[249:250], v[40:41]
	s_mul_i32 s2, s9, 0x820
	s_mul_hi_u32 s3, s8, 0x820
	s_add_i32 s2, s3, s2
	s_mul_i32 s3, s8, 0x820
	v_mov_b32_e32 v11, s2
	v_mad_u64_u32 v[6:7], s[0:1], s11, v233, v[1:2]
	v_mad_u64_u32 v[7:8], s[0:1], s8, v39, 0
	v_fma_f64 v[2:3], v[247:248], v[40:41], v[2:3]
	v_mov_b32_e32 v1, v6
	v_mov_b32_e32 v6, v8
	v_mad_u64_u32 v[8:9], s[0:1], s9, v39, v[6:7]
	s_mov_b32 s0, 0x7f9b2ce6
	v_fma_f64 v[4:5], v[247:248], v[42:43], -v[4:5]
	ds_read_b128 v[40:43], v255 offset:6240
	s_mov_b32 s1, 0x3f4934c6
	v_mul_f64 v[32:33], v[2:3], s[0:1]
	s_waitcnt lgkmcnt(2)
	v_mul_f64 v[2:3], v[22:23], v[46:47]
	v_lshlrev_b64 v[0:1], 4, v[0:1]
	v_mov_b32_e32 v6, s7
	v_add_co_u32_e32 v9, vcc, s6, v0
	v_mul_f64 v[34:35], v[4:5], s[0:1]
	v_mul_f64 v[4:5], v[22:23], v[44:45]
	v_addc_co_u32_e32 v6, vcc, v6, v1, vcc
	v_fma_f64 v[2:3], v[20:21], v[44:45], v[2:3]
	v_lshlrev_b64 v[0:1], 4, v[7:8]
	v_add_co_u32_e32 v0, vcc, v9, v0
	v_fma_f64 v[4:5], v[20:21], v[46:47], -v[4:5]
	v_addc_co_u32_e32 v1, vcc, v6, v1, vcc
	global_store_dwordx4 v[0:1], v[32:35], off
	v_add_co_u32_e32 v10, vcc, s3, v0
	v_mul_f64 v[32:33], v[2:3], s[0:1]
	s_waitcnt lgkmcnt(1)
	v_mul_f64 v[2:3], v[26:27], v[14:15]
	v_mul_f64 v[34:35], v[4:5], s[0:1]
	v_addc_co_u32_e32 v11, vcc, v1, v11, vcc
	v_mul_f64 v[6:7], v[26:27], v[12:13]
	ds_read_b128 v[20:23], v255 offset:8320
	s_waitcnt lgkmcnt(1)
	v_mul_f64 v[8:9], v[236:237], v[40:41]
	v_fma_f64 v[2:3], v[24:25], v[12:13], v[2:3]
	global_store_dwordx4 v[10:11], v[32:35], off
	v_add_co_u32_e32 v10, vcc, s3, v10
	v_fma_f64 v[4:5], v[24:25], v[14:15], -v[6:7]
	v_mul_f64 v[6:7], v[236:237], v[42:43]
	v_mov_b32_e32 v32, s2
	v_addc_co_u32_e32 v11, vcc, v11, v32, vcc
	v_mul_f64 v[12:13], v[2:3], s[0:1]
	ds_read_b128 v[0:3], v255 offset:10400
	buffer_load_dword v16, off, s[52:55], 0 ; 4-byte Folded Reload
	buffer_load_dword v17, off, s[52:55], 0 offset:4 ; 4-byte Folded Reload
	buffer_load_dword v18, off, s[52:55], 0 offset:8 ; 4-byte Folded Reload
	;; [unrolled: 1-line block ×3, first 2 shown]
	v_mul_f64 v[14:15], v[4:5], s[0:1]
	v_fma_f64 v[4:5], v[234:235], v[40:41], v[6:7]
	v_fma_f64 v[6:7], v[234:235], v[42:43], -v[8:9]
	s_waitcnt lgkmcnt(0)
	v_mul_f64 v[24:25], v[240:241], v[0:1]
	global_store_dwordx4 v[10:11], v[12:15], off
	s_nop 0
	v_mul_f64 v[12:13], v[4:5], s[0:1]
	v_mul_f64 v[14:15], v[6:7], s[0:1]
	v_add_co_u32_e32 v10, vcc, s3, v10
	v_addc_co_u32_e32 v11, vcc, v11, v32, vcc
	global_store_dwordx4 v[10:11], v[12:15], off
	v_add_co_u32_e32 v10, vcc, s3, v10
	s_waitcnt vmcnt(2)
	v_mul_f64 v[8:9], v[18:19], v[22:23]
	v_mul_f64 v[26:27], v[18:19], v[20:21]
	v_fma_f64 v[4:5], v[16:17], v[20:21], v[8:9]
	v_fma_f64 v[6:7], v[16:17], v[22:23], -v[26:27]
	v_mul_f64 v[8:9], v[240:241], v[2:3]
	ds_read_b128 v[20:23], v255 offset:12480
	v_mov_b32_e32 v26, s2
	v_addc_co_u32_e32 v11, vcc, v11, v26, vcc
	v_mul_f64 v[12:13], v[4:5], s[0:1]
	v_mul_f64 v[14:15], v[6:7], s[0:1]
	v_fma_f64 v[4:5], v[238:239], v[0:1], v[8:9]
	v_fma_f64 v[6:7], v[238:239], v[2:3], -v[24:25]
	ds_read_b128 v[0:3], v255 offset:14560
	buffer_load_dword v16, off, s[52:55], 0 offset:16 ; 4-byte Folded Reload
	buffer_load_dword v17, off, s[52:55], 0 offset:20 ; 4-byte Folded Reload
	;; [unrolled: 1-line block ×4, first 2 shown]
	v_mul_f64 v[4:5], v[4:5], s[0:1]
	global_store_dwordx4 v[10:11], v[12:15], off
	v_mul_f64 v[6:7], v[6:7], s[0:1]
	s_waitcnt vmcnt(1) lgkmcnt(1)
	v_mul_f64 v[8:9], v[18:19], v[22:23]
	v_mul_f64 v[24:25], v[18:19], v[20:21]
	v_fma_f64 v[8:9], v[16:17], v[20:21], v[8:9]
	v_fma_f64 v[12:13], v[16:17], v[22:23], -v[24:25]
	buffer_load_dword v16, off, s[52:55], 0 offset:48 ; 4-byte Folded Reload
	buffer_load_dword v17, off, s[52:55], 0 offset:52 ; 4-byte Folded Reload
	;; [unrolled: 1-line block ×4, first 2 shown]
	v_add_co_u32_e32 v22, vcc, s3, v10
	v_addc_co_u32_e32 v23, vcc, v11, v26, vcc
	global_store_dwordx4 v[22:23], v[4:7], off
	v_mov_b32_e32 v24, s2
	v_mul_f64 v[4:5], v[8:9], s[0:1]
	v_mul_f64 v[6:7], v[12:13], s[0:1]
	s_waitcnt vmcnt(1) lgkmcnt(0)
	v_mul_f64 v[14:15], v[18:19], v[2:3]
	v_mul_f64 v[20:21], v[18:19], v[0:1]
	v_fma_f64 v[12:13], v[16:17], v[0:1], v[14:15]
	v_fma_f64 v[14:15], v[16:17], v[2:3], -v[20:21]
	ds_read_b128 v[0:3], v255 offset:16640
	ds_read_b128 v[8:11], v255 offset:18720
	v_add_co_u32_e32 v20, vcc, s3, v22
	v_addc_co_u32_e32 v21, vcc, v23, v24, vcc
	s_waitcnt lgkmcnt(1)
	v_mul_f64 v[22:23], v[30:31], v[2:3]
	v_mul_f64 v[18:19], v[30:31], v[0:1]
	buffer_load_dword v30, off, s[52:55], 0 offset:32 ; 4-byte Folded Reload
	buffer_load_dword v31, off, s[52:55], 0 offset:36 ; 4-byte Folded Reload
	buffer_load_dword v32, off, s[52:55], 0 offset:40 ; 4-byte Folded Reload
	buffer_load_dword v33, off, s[52:55], 0 offset:44 ; 4-byte Folded Reload
	v_fma_f64 v[0:1], v[28:29], v[0:1], v[22:23]
	v_fma_f64 v[2:3], v[28:29], v[2:3], -v[18:19]
	global_store_dwordx4 v[20:21], v[4:7], off
	v_mul_f64 v[0:1], v[0:1], s[0:1]
	v_mul_f64 v[4:5], v[12:13], s[0:1]
	v_mul_f64 v[6:7], v[14:15], s[0:1]
	v_mov_b32_e32 v13, s2
	v_add_co_u32_e32 v12, vcc, s3, v20
	v_mul_f64 v[2:3], v[2:3], s[0:1]
	v_addc_co_u32_e32 v13, vcc, v21, v13, vcc
	v_mov_b32_e32 v14, s2
	global_store_dwordx4 v[12:13], v[4:7], off
	s_waitcnt vmcnt(2) lgkmcnt(0)
	v_mul_f64 v[24:25], v[32:33], v[10:11]
	v_mul_f64 v[26:27], v[32:33], v[8:9]
	v_fma_f64 v[8:9], v[30:31], v[8:9], v[24:25]
	v_fma_f64 v[10:11], v[30:31], v[10:11], -v[26:27]
	v_mul_f64 v[4:5], v[8:9], s[0:1]
	v_mul_f64 v[6:7], v[10:11], s[0:1]
	v_add_co_u32_e32 v8, vcc, s3, v12
	v_addc_co_u32_e32 v9, vcc, v13, v14, vcc
	global_store_dwordx4 v[8:9], v[0:3], off
	s_nop 0
	v_mov_b32_e32 v1, s2
	v_add_co_u32_e32 v0, vcc, s3, v8
	v_addc_co_u32_e32 v1, vcc, v9, v1, vcc
	global_store_dwordx4 v[0:1], v[4:7], off
.LBB0_10:
	s_endpgm
	.section	.rodata,"a",@progbits
	.p2align	6, 0x0
	.amdhsa_kernel bluestein_single_fwd_len1300_dim1_dp_op_CI_CI
		.amdhsa_group_segment_fixed_size 20800
		.amdhsa_private_segment_fixed_size 508
		.amdhsa_kernarg_size 104
		.amdhsa_user_sgpr_count 6
		.amdhsa_user_sgpr_private_segment_buffer 1
		.amdhsa_user_sgpr_dispatch_ptr 0
		.amdhsa_user_sgpr_queue_ptr 0
		.amdhsa_user_sgpr_kernarg_segment_ptr 1
		.amdhsa_user_sgpr_dispatch_id 0
		.amdhsa_user_sgpr_flat_scratch_init 0
		.amdhsa_user_sgpr_private_segment_size 0
		.amdhsa_uses_dynamic_stack 0
		.amdhsa_system_sgpr_private_segment_wavefront_offset 1
		.amdhsa_system_sgpr_workgroup_id_x 1
		.amdhsa_system_sgpr_workgroup_id_y 0
		.amdhsa_system_sgpr_workgroup_id_z 0
		.amdhsa_system_sgpr_workgroup_info 0
		.amdhsa_system_vgpr_workitem_id 0
		.amdhsa_next_free_vgpr 256
		.amdhsa_next_free_sgpr 56
		.amdhsa_reserve_vcc 1
		.amdhsa_reserve_flat_scratch 0
		.amdhsa_float_round_mode_32 0
		.amdhsa_float_round_mode_16_64 0
		.amdhsa_float_denorm_mode_32 3
		.amdhsa_float_denorm_mode_16_64 3
		.amdhsa_dx10_clamp 1
		.amdhsa_ieee_mode 1
		.amdhsa_fp16_overflow 0
		.amdhsa_exception_fp_ieee_invalid_op 0
		.amdhsa_exception_fp_denorm_src 0
		.amdhsa_exception_fp_ieee_div_zero 0
		.amdhsa_exception_fp_ieee_overflow 0
		.amdhsa_exception_fp_ieee_underflow 0
		.amdhsa_exception_fp_ieee_inexact 0
		.amdhsa_exception_int_div_zero 0
	.end_amdhsa_kernel
	.text
.Lfunc_end0:
	.size	bluestein_single_fwd_len1300_dim1_dp_op_CI_CI, .Lfunc_end0-bluestein_single_fwd_len1300_dim1_dp_op_CI_CI
                                        ; -- End function
	.section	.AMDGPU.csdata,"",@progbits
; Kernel info:
; codeLenInByte = 20592
; NumSgprs: 60
; NumVgprs: 256
; ScratchSize: 508
; MemoryBound: 0
; FloatMode: 240
; IeeeMode: 1
; LDSByteSize: 20800 bytes/workgroup (compile time only)
; SGPRBlocks: 7
; VGPRBlocks: 63
; NumSGPRsForWavesPerEU: 60
; NumVGPRsForWavesPerEU: 256
; Occupancy: 1
; WaveLimiterHint : 1
; COMPUTE_PGM_RSRC2:SCRATCH_EN: 1
; COMPUTE_PGM_RSRC2:USER_SGPR: 6
; COMPUTE_PGM_RSRC2:TRAP_HANDLER: 0
; COMPUTE_PGM_RSRC2:TGID_X_EN: 1
; COMPUTE_PGM_RSRC2:TGID_Y_EN: 0
; COMPUTE_PGM_RSRC2:TGID_Z_EN: 0
; COMPUTE_PGM_RSRC2:TIDIG_COMP_CNT: 0
	.type	__hip_cuid_61d7663ca1d4d831,@object ; @__hip_cuid_61d7663ca1d4d831
	.section	.bss,"aw",@nobits
	.globl	__hip_cuid_61d7663ca1d4d831
__hip_cuid_61d7663ca1d4d831:
	.byte	0                               ; 0x0
	.size	__hip_cuid_61d7663ca1d4d831, 1

	.ident	"AMD clang version 19.0.0git (https://github.com/RadeonOpenCompute/llvm-project roc-6.4.0 25133 c7fe45cf4b819c5991fe208aaa96edf142730f1d)"
	.section	".note.GNU-stack","",@progbits
	.addrsig
	.addrsig_sym __hip_cuid_61d7663ca1d4d831
	.amdgpu_metadata
---
amdhsa.kernels:
  - .args:
      - .actual_access:  read_only
        .address_space:  global
        .offset:         0
        .size:           8
        .value_kind:     global_buffer
      - .actual_access:  read_only
        .address_space:  global
        .offset:         8
        .size:           8
        .value_kind:     global_buffer
      - .actual_access:  read_only
        .address_space:  global
        .offset:         16
        .size:           8
        .value_kind:     global_buffer
      - .actual_access:  read_only
        .address_space:  global
        .offset:         24
        .size:           8
        .value_kind:     global_buffer
      - .actual_access:  read_only
        .address_space:  global
        .offset:         32
        .size:           8
        .value_kind:     global_buffer
      - .offset:         40
        .size:           8
        .value_kind:     by_value
      - .address_space:  global
        .offset:         48
        .size:           8
        .value_kind:     global_buffer
      - .address_space:  global
        .offset:         56
        .size:           8
        .value_kind:     global_buffer
      - .address_space:  global
        .offset:         64
        .size:           8
        .value_kind:     global_buffer
      - .address_space:  global
        .offset:         72
        .size:           8
        .value_kind:     global_buffer
      - .offset:         80
        .size:           4
        .value_kind:     by_value
      - .address_space:  global
        .offset:         88
        .size:           8
        .value_kind:     global_buffer
      - .address_space:  global
        .offset:         96
        .size:           8
        .value_kind:     global_buffer
    .group_segment_fixed_size: 20800
    .kernarg_segment_align: 8
    .kernarg_segment_size: 104
    .language:       OpenCL C
    .language_version:
      - 2
      - 0
    .max_flat_workgroup_size: 130
    .name:           bluestein_single_fwd_len1300_dim1_dp_op_CI_CI
    .private_segment_fixed_size: 508
    .sgpr_count:     60
    .sgpr_spill_count: 0
    .symbol:         bluestein_single_fwd_len1300_dim1_dp_op_CI_CI.kd
    .uniform_work_group_size: 1
    .uses_dynamic_stack: false
    .vgpr_count:     256
    .vgpr_spill_count: 126
    .wavefront_size: 64
amdhsa.target:   amdgcn-amd-amdhsa--gfx906
amdhsa.version:
  - 1
  - 2
...

	.end_amdgpu_metadata
